;; amdgpu-corpus repo=ROCm/rocSPARSE kind=compiled arch=gfx1250 opt=O3
	.amdgcn_target "amdgcn-amd-amdhsa--gfx1250"
	.amdhsa_code_object_version 6
	.section	.text._ZN9rocsparseL19csxsldu_fill_kernelILj1024EL20rocsparse_diag_type_1ELS1_0EiiiEEvT4_PKT3_PKS2_PKT2_21rocsparse_index_base_S5_PS2_PS8_SB_S5_SC_SD_SB_SD_,"axG",@progbits,_ZN9rocsparseL19csxsldu_fill_kernelILj1024EL20rocsparse_diag_type_1ELS1_0EiiiEEvT4_PKT3_PKS2_PKT2_21rocsparse_index_base_S5_PS2_PS8_SB_S5_SC_SD_SB_SD_,comdat
	.globl	_ZN9rocsparseL19csxsldu_fill_kernelILj1024EL20rocsparse_diag_type_1ELS1_0EiiiEEvT4_PKT3_PKS2_PKT2_21rocsparse_index_base_S5_PS2_PS8_SB_S5_SC_SD_SB_SD_ ; -- Begin function _ZN9rocsparseL19csxsldu_fill_kernelILj1024EL20rocsparse_diag_type_1ELS1_0EiiiEEvT4_PKT3_PKS2_PKT2_21rocsparse_index_base_S5_PS2_PS8_SB_S5_SC_SD_SB_SD_
	.p2align	8
	.type	_ZN9rocsparseL19csxsldu_fill_kernelILj1024EL20rocsparse_diag_type_1ELS1_0EiiiEEvT4_PKT3_PKS2_PKT2_21rocsparse_index_base_S5_PS2_PS8_SB_S5_SC_SD_SB_SD_,@function
_ZN9rocsparseL19csxsldu_fill_kernelILj1024EL20rocsparse_diag_type_1ELS1_0EiiiEEvT4_PKT3_PKS2_PKT2_21rocsparse_index_base_S5_PS2_PS8_SB_S5_SC_SD_SB_SD_: ; @_ZN9rocsparseL19csxsldu_fill_kernelILj1024EL20rocsparse_diag_type_1ELS1_0EiiiEEvT4_PKT3_PKS2_PKT2_21rocsparse_index_base_S5_PS2_PS8_SB_S5_SC_SD_SB_SD_
; %bb.0:
	s_clause 0x1
	s_load_b32 s2, s[0:1], 0x7c
	s_load_b32 s3, s[0:1], 0x0
	s_bfe_u32 s4, ttmp6, 0x4000c
	s_and_b32 s5, ttmp6, 15
	s_add_co_i32 s4, s4, 1
	s_getreg_b32 s6, hwreg(HW_REG_IB_STS2, 6, 4)
	s_mul_i32 s4, ttmp9, s4
	s_delay_alu instid0(SALU_CYCLE_1) | instskip(SKIP_4) | instid1(SALU_CYCLE_1)
	s_add_co_i32 s5, s5, s4
	s_wait_kmcnt 0x0
	s_and_b32 s2, s2, 0xffff
	s_cmp_eq_u32 s6, 0
	s_cselect_b32 s4, ttmp9, s5
	v_mad_u32 v2, s4, s2, v0
	s_mov_b32 s2, exec_lo
	s_delay_alu instid0(VALU_DEP_1)
	v_cmpx_gt_i32_e64 s3, v2
	s_cbranch_execz .LBB0_10
; %bb.1:
	s_clause 0x1
	s_load_b128 s[8:11], s[0:1], 0x8
	s_load_b128 s[4:7], s[0:1], 0x48
	v_ashrrev_i32_e32 v3, 31, v2
	s_clause 0x1
	s_load_b96 s[16:18], s[0:1], 0x18
	s_load_b64 s[2:3], s[0:1], 0x58
	s_wait_kmcnt 0x0
	v_lshl_add_u64 v[0:1], v[2:3], 2, s[8:9]
	global_load_b64 v[4:5], v[0:1], off
	global_load_b32 v9, v2, s[4:5] scale_offset
	s_wait_xcnt 0x0
	s_mov_b32 s4, exec_lo
	s_wait_loadcnt 0x1
	v_subrev_nc_u32_e32 v0, s18, v4
	v_subrev_nc_u32_e32 v8, s18, v5
	v_cmpx_lt_i32_e64 v4, v5
	s_cbranch_execz .LBB0_7
; %bb.2:
	s_clause 0x1
	s_load_b128 s[12:15], s[0:1], 0x28
	s_load_b96 s[20:22], s[0:1], 0x38
	v_ashrrev_i32_e32 v1, 31, v0
	s_mov_b32 s5, 0
                                        ; implicit-def: $sgpr8
	s_delay_alu instid0(VALU_DEP_1)
	v_lshlrev_b64_e32 v[6:7], 2, v[0:1]
	s_wait_kmcnt 0x0
	v_lshl_add_u64 v[4:5], v[2:3], 2, s[12:13]
	global_load_b32 v3, v[4:5], off
	s_wait_xcnt 0x0
	v_add_nc_u64_e32 v[4:5], s[10:11], v[6:7]
	v_add_nc_u64_e32 v[6:7], s[16:17], v[6:7]
	s_wait_loadcnt 0x0
	v_subrev_nc_u32_e32 v1, s22, v3
	s_branch .LBB0_4
.LBB0_3:                                ;   in Loop: Header=BB0_4 Depth=1
	s_or_b32 exec_lo, exec_lo, s9
	s_delay_alu instid0(SALU_CYCLE_1) | instskip(NEXT) | instid1(SALU_CYCLE_1)
	s_and_b32 s9, exec_lo, s8
	s_or_b32 s5, s9, s5
	s_delay_alu instid0(SALU_CYCLE_1)
	s_and_not1_b32 exec_lo, exec_lo, s5
	s_cbranch_execz .LBB0_6
.LBB0_4:                                ; =>This Inner Loop Header: Depth=1
	global_load_b32 v3, v[4:5], off
	s_or_b32 s8, s8, exec_lo
	s_mov_b32 s9, exec_lo
	s_wait_loadcnt 0x0
	v_subrev_nc_u32_e32 v3, s18, v3
	s_wait_xcnt 0x0
	s_delay_alu instid0(VALU_DEP_1)
	v_cmpx_gt_i32_e64 v2, v3
	s_cbranch_execz .LBB0_3
; %bb.5:                                ;   in Loop: Header=BB0_4 Depth=1
	v_dual_add_nc_u32 v3, s22, v3 :: v_dual_add_nc_u32 v0, 1, v0
	v_add_nc_u64_e32 v[4:5], 4, v[4:5]
	s_and_not1_b32 s8, s8, exec_lo
	global_store_b32 v1, v3, s[14:15] scale_offset
	global_load_b32 v3, v[6:7], off
	v_cmp_ge_i32_e32 vcc_lo, v0, v8
	s_wait_xcnt 0x0
	v_add_nc_u64_e32 v[6:7], 4, v[6:7]
	s_and_b32 s12, vcc_lo, exec_lo
	s_delay_alu instid0(SALU_CYCLE_1)
	s_or_b32 s8, s8, s12
	s_wait_loadcnt 0x0
	global_store_b32 v1, v3, s[20:21] scale_offset
	s_wait_xcnt 0x0
	v_add_nc_u32_e32 v1, 1, v1
	s_branch .LBB0_3
.LBB0_6:
	s_or_b32 exec_lo, exec_lo, s5
.LBB0_7:
	s_delay_alu instid0(SALU_CYCLE_1) | instskip(NEXT) | instid1(VALU_DEP_2)
	s_or_b32 exec_lo, exec_lo, s4
	v_cmp_lt_i32_e32 vcc_lo, v0, v8
	s_and_b32 exec_lo, exec_lo, vcc_lo
	s_cbranch_execz .LBB0_10
; %bb.8:
	s_load_b32 s0, s[0:1], 0x60
	v_ashrrev_i32_e32 v1, 31, v0
	s_wait_xcnt 0x0
	s_mov_b32 s1, 0
	s_delay_alu instid0(VALU_DEP_1) | instskip(NEXT) | instid1(VALU_DEP_1)
	v_lshlrev_b64_e32 v[4:5], 2, v[0:1]
	v_add_nc_u64_e32 v[2:3], s[10:11], v[4:5]
	v_add_nc_u64_e32 v[4:5], s[16:17], v[4:5]
	s_wait_loadcnt 0x0
	s_wait_kmcnt 0x0
	v_subrev_nc_u32_e32 v1, s0, v9
	s_sub_co_i32 s0, s0, s18
.LBB0_9:                                ; =>This Inner Loop Header: Depth=1
	global_load_b32 v6, v[2:3], off
	s_wait_xcnt 0x0
	v_add_nc_u64_e32 v[2:3], 4, v[2:3]
	v_add_nc_u32_e32 v0, 1, v0
	s_delay_alu instid0(VALU_DEP_1)
	v_cmp_ge_i32_e32 vcc_lo, v0, v8
	s_or_b32 s1, vcc_lo, s1
	s_wait_loadcnt 0x0
	v_add_nc_u32_e32 v6, s0, v6
	global_store_b32 v1, v6, s[6:7] scale_offset
	global_load_b32 v6, v[4:5], off
	s_wait_xcnt 0x0
	v_add_nc_u64_e32 v[4:5], 4, v[4:5]
	s_wait_loadcnt 0x0
	global_store_b32 v1, v6, s[2:3] scale_offset
	s_wait_xcnt 0x0
	v_add_nc_u32_e32 v1, 1, v1
	s_and_not1_b32 exec_lo, exec_lo, s1
	s_cbranch_execnz .LBB0_9
.LBB0_10:
	s_endpgm
	.section	.rodata,"a",@progbits
	.p2align	6, 0x0
	.amdhsa_kernel _ZN9rocsparseL19csxsldu_fill_kernelILj1024EL20rocsparse_diag_type_1ELS1_0EiiiEEvT4_PKT3_PKS2_PKT2_21rocsparse_index_base_S5_PS2_PS8_SB_S5_SC_SD_SB_SD_
		.amdhsa_group_segment_fixed_size 0
		.amdhsa_private_segment_fixed_size 0
		.amdhsa_kernarg_size 368
		.amdhsa_user_sgpr_count 2
		.amdhsa_user_sgpr_dispatch_ptr 0
		.amdhsa_user_sgpr_queue_ptr 0
		.amdhsa_user_sgpr_kernarg_segment_ptr 1
		.amdhsa_user_sgpr_dispatch_id 0
		.amdhsa_user_sgpr_kernarg_preload_length 0
		.amdhsa_user_sgpr_kernarg_preload_offset 0
		.amdhsa_user_sgpr_private_segment_size 0
		.amdhsa_wavefront_size32 1
		.amdhsa_uses_dynamic_stack 0
		.amdhsa_enable_private_segment 0
		.amdhsa_system_sgpr_workgroup_id_x 1
		.amdhsa_system_sgpr_workgroup_id_y 0
		.amdhsa_system_sgpr_workgroup_id_z 0
		.amdhsa_system_sgpr_workgroup_info 0
		.amdhsa_system_vgpr_workitem_id 0
		.amdhsa_next_free_vgpr 10
		.amdhsa_next_free_sgpr 23
		.amdhsa_named_barrier_count 0
		.amdhsa_reserve_vcc 1
		.amdhsa_float_round_mode_32 0
		.amdhsa_float_round_mode_16_64 0
		.amdhsa_float_denorm_mode_32 3
		.amdhsa_float_denorm_mode_16_64 3
		.amdhsa_fp16_overflow 0
		.amdhsa_memory_ordered 1
		.amdhsa_forward_progress 1
		.amdhsa_inst_pref_size 6
		.amdhsa_round_robin_scheduling 0
		.amdhsa_exception_fp_ieee_invalid_op 0
		.amdhsa_exception_fp_denorm_src 0
		.amdhsa_exception_fp_ieee_div_zero 0
		.amdhsa_exception_fp_ieee_overflow 0
		.amdhsa_exception_fp_ieee_underflow 0
		.amdhsa_exception_fp_ieee_inexact 0
		.amdhsa_exception_int_div_zero 0
	.end_amdhsa_kernel
	.section	.text._ZN9rocsparseL19csxsldu_fill_kernelILj1024EL20rocsparse_diag_type_1ELS1_0EiiiEEvT4_PKT3_PKS2_PKT2_21rocsparse_index_base_S5_PS2_PS8_SB_S5_SC_SD_SB_SD_,"axG",@progbits,_ZN9rocsparseL19csxsldu_fill_kernelILj1024EL20rocsparse_diag_type_1ELS1_0EiiiEEvT4_PKT3_PKS2_PKT2_21rocsparse_index_base_S5_PS2_PS8_SB_S5_SC_SD_SB_SD_,comdat
.Lfunc_end0:
	.size	_ZN9rocsparseL19csxsldu_fill_kernelILj1024EL20rocsparse_diag_type_1ELS1_0EiiiEEvT4_PKT3_PKS2_PKT2_21rocsparse_index_base_S5_PS2_PS8_SB_S5_SC_SD_SB_SD_, .Lfunc_end0-_ZN9rocsparseL19csxsldu_fill_kernelILj1024EL20rocsparse_diag_type_1ELS1_0EiiiEEvT4_PKT3_PKS2_PKT2_21rocsparse_index_base_S5_PS2_PS8_SB_S5_SC_SD_SB_SD_
                                        ; -- End function
	.set _ZN9rocsparseL19csxsldu_fill_kernelILj1024EL20rocsparse_diag_type_1ELS1_0EiiiEEvT4_PKT3_PKS2_PKT2_21rocsparse_index_base_S5_PS2_PS8_SB_S5_SC_SD_SB_SD_.num_vgpr, 10
	.set _ZN9rocsparseL19csxsldu_fill_kernelILj1024EL20rocsparse_diag_type_1ELS1_0EiiiEEvT4_PKT3_PKS2_PKT2_21rocsparse_index_base_S5_PS2_PS8_SB_S5_SC_SD_SB_SD_.num_agpr, 0
	.set _ZN9rocsparseL19csxsldu_fill_kernelILj1024EL20rocsparse_diag_type_1ELS1_0EiiiEEvT4_PKT3_PKS2_PKT2_21rocsparse_index_base_S5_PS2_PS8_SB_S5_SC_SD_SB_SD_.numbered_sgpr, 23
	.set _ZN9rocsparseL19csxsldu_fill_kernelILj1024EL20rocsparse_diag_type_1ELS1_0EiiiEEvT4_PKT3_PKS2_PKT2_21rocsparse_index_base_S5_PS2_PS8_SB_S5_SC_SD_SB_SD_.num_named_barrier, 0
	.set _ZN9rocsparseL19csxsldu_fill_kernelILj1024EL20rocsparse_diag_type_1ELS1_0EiiiEEvT4_PKT3_PKS2_PKT2_21rocsparse_index_base_S5_PS2_PS8_SB_S5_SC_SD_SB_SD_.private_seg_size, 0
	.set _ZN9rocsparseL19csxsldu_fill_kernelILj1024EL20rocsparse_diag_type_1ELS1_0EiiiEEvT4_PKT3_PKS2_PKT2_21rocsparse_index_base_S5_PS2_PS8_SB_S5_SC_SD_SB_SD_.uses_vcc, 1
	.set _ZN9rocsparseL19csxsldu_fill_kernelILj1024EL20rocsparse_diag_type_1ELS1_0EiiiEEvT4_PKT3_PKS2_PKT2_21rocsparse_index_base_S5_PS2_PS8_SB_S5_SC_SD_SB_SD_.uses_flat_scratch, 0
	.set _ZN9rocsparseL19csxsldu_fill_kernelILj1024EL20rocsparse_diag_type_1ELS1_0EiiiEEvT4_PKT3_PKS2_PKT2_21rocsparse_index_base_S5_PS2_PS8_SB_S5_SC_SD_SB_SD_.has_dyn_sized_stack, 0
	.set _ZN9rocsparseL19csxsldu_fill_kernelILj1024EL20rocsparse_diag_type_1ELS1_0EiiiEEvT4_PKT3_PKS2_PKT2_21rocsparse_index_base_S5_PS2_PS8_SB_S5_SC_SD_SB_SD_.has_recursion, 0
	.set _ZN9rocsparseL19csxsldu_fill_kernelILj1024EL20rocsparse_diag_type_1ELS1_0EiiiEEvT4_PKT3_PKS2_PKT2_21rocsparse_index_base_S5_PS2_PS8_SB_S5_SC_SD_SB_SD_.has_indirect_call, 0
	.section	.AMDGPU.csdata,"",@progbits
; Kernel info:
; codeLenInByte = 656
; TotalNumSgprs: 25
; NumVgprs: 10
; ScratchSize: 0
; MemoryBound: 0
; FloatMode: 240
; IeeeMode: 1
; LDSByteSize: 0 bytes/workgroup (compile time only)
; SGPRBlocks: 0
; VGPRBlocks: 0
; NumSGPRsForWavesPerEU: 25
; NumVGPRsForWavesPerEU: 10
; NamedBarCnt: 0
; Occupancy: 16
; WaveLimiterHint : 0
; COMPUTE_PGM_RSRC2:SCRATCH_EN: 0
; COMPUTE_PGM_RSRC2:USER_SGPR: 2
; COMPUTE_PGM_RSRC2:TRAP_HANDLER: 0
; COMPUTE_PGM_RSRC2:TGID_X_EN: 1
; COMPUTE_PGM_RSRC2:TGID_Y_EN: 0
; COMPUTE_PGM_RSRC2:TGID_Z_EN: 0
; COMPUTE_PGM_RSRC2:TIDIG_COMP_CNT: 0
	.section	.text._ZN9rocsparseL19csxsldu_fill_kernelILj1024EL20rocsparse_diag_type_1ELS1_1EiiiEEvT4_PKT3_PKS2_PKT2_21rocsparse_index_base_S5_PS2_PS8_SB_S5_SC_SD_SB_SD_,"axG",@progbits,_ZN9rocsparseL19csxsldu_fill_kernelILj1024EL20rocsparse_diag_type_1ELS1_1EiiiEEvT4_PKT3_PKS2_PKT2_21rocsparse_index_base_S5_PS2_PS8_SB_S5_SC_SD_SB_SD_,comdat
	.globl	_ZN9rocsparseL19csxsldu_fill_kernelILj1024EL20rocsparse_diag_type_1ELS1_1EiiiEEvT4_PKT3_PKS2_PKT2_21rocsparse_index_base_S5_PS2_PS8_SB_S5_SC_SD_SB_SD_ ; -- Begin function _ZN9rocsparseL19csxsldu_fill_kernelILj1024EL20rocsparse_diag_type_1ELS1_1EiiiEEvT4_PKT3_PKS2_PKT2_21rocsparse_index_base_S5_PS2_PS8_SB_S5_SC_SD_SB_SD_
	.p2align	8
	.type	_ZN9rocsparseL19csxsldu_fill_kernelILj1024EL20rocsparse_diag_type_1ELS1_1EiiiEEvT4_PKT3_PKS2_PKT2_21rocsparse_index_base_S5_PS2_PS8_SB_S5_SC_SD_SB_SD_,@function
_ZN9rocsparseL19csxsldu_fill_kernelILj1024EL20rocsparse_diag_type_1ELS1_1EiiiEEvT4_PKT3_PKS2_PKT2_21rocsparse_index_base_S5_PS2_PS8_SB_S5_SC_SD_SB_SD_: ; @_ZN9rocsparseL19csxsldu_fill_kernelILj1024EL20rocsparse_diag_type_1ELS1_1EiiiEEvT4_PKT3_PKS2_PKT2_21rocsparse_index_base_S5_PS2_PS8_SB_S5_SC_SD_SB_SD_
; %bb.0:
	s_clause 0x1
	s_load_b32 s2, s[0:1], 0x7c
	s_load_b32 s3, s[0:1], 0x0
	s_bfe_u32 s4, ttmp6, 0x4000c
	s_and_b32 s5, ttmp6, 15
	s_add_co_i32 s4, s4, 1
	s_getreg_b32 s6, hwreg(HW_REG_IB_STS2, 6, 4)
	s_mul_i32 s4, ttmp9, s4
	s_delay_alu instid0(SALU_CYCLE_1) | instskip(SKIP_4) | instid1(SALU_CYCLE_1)
	s_add_co_i32 s5, s5, s4
	s_wait_kmcnt 0x0
	s_and_b32 s2, s2, 0xffff
	s_cmp_eq_u32 s6, 0
	s_cselect_b32 s4, ttmp9, s5
	v_mad_u32 v2, s4, s2, v0
	s_mov_b32 s2, exec_lo
	s_delay_alu instid0(VALU_DEP_1)
	v_cmpx_gt_i32_e64 s3, v2
	s_cbranch_execz .LBB1_14
; %bb.1:
	s_clause 0x1
	s_load_b128 s[8:11], s[0:1], 0x8
	s_load_b128 s[4:7], s[0:1], 0x48
	v_ashrrev_i32_e32 v3, 31, v2
	s_clause 0x1
	s_load_b96 s[16:18], s[0:1], 0x18
	s_load_b64 s[2:3], s[0:1], 0x58
	s_wait_kmcnt 0x0
	v_lshl_add_u64 v[0:1], v[2:3], 2, s[8:9]
	global_load_b64 v[4:5], v[0:1], off
	global_load_b32 v11, v2, s[4:5] scale_offset
	s_wait_xcnt 0x0
	s_mov_b32 s4, exec_lo
	s_wait_loadcnt 0x1
	v_subrev_nc_u32_e32 v0, s18, v4
	v_subrev_nc_u32_e32 v10, s18, v5
	v_cmpx_lt_i32_e64 v4, v5
	s_cbranch_execz .LBB1_11
; %bb.2:
	s_clause 0x1
	s_load_b128 s[12:15], s[0:1], 0x28
	s_load_b96 s[20:22], s[0:1], 0x38
	v_ashrrev_i32_e32 v1, 31, v0
	s_mov_b32 s8, 0
                                        ; implicit-def: $sgpr5
                                        ; implicit-def: $sgpr9
	s_wait_kmcnt 0x0
	v_lshl_add_u64 v[4:5], v[2:3], 2, s[12:13]
                                        ; implicit-def: $sgpr12
	global_load_b32 v12, v[4:5], off
	s_wait_xcnt 0x0
	v_lshlrev_b64_e32 v[4:5], 2, v[0:1]
	s_delay_alu instid0(VALU_DEP_1)
	v_add_nc_u64_e32 v[6:7], s[10:11], v[4:5]
	v_add_nc_u64_e32 v[8:9], s[16:17], v[4:5]
	s_wait_loadcnt 0x0
	v_subrev_nc_u32_e32 v12, s22, v12
	s_branch .LBB1_4
.LBB1_3:                                ;   in Loop: Header=BB1_4 Depth=1
	s_or_b32 exec_lo, exec_lo, s13
	s_delay_alu instid0(SALU_CYCLE_1) | instskip(NEXT) | instid1(SALU_CYCLE_1)
	s_and_b32 s13, exec_lo, s12
	s_or_b32 s8, s13, s8
	s_and_not1_b32 s5, s5, exec_lo
	s_and_b32 s13, s9, exec_lo
	s_delay_alu instid0(SALU_CYCLE_1)
	s_or_b32 s5, s5, s13
	s_and_not1_b32 exec_lo, exec_lo, s8
	s_cbranch_execz .LBB1_6
.LBB1_4:                                ; =>This Inner Loop Header: Depth=1
	global_load_b32 v4, v[6:7], off
	s_or_b32 s9, s9, exec_lo
	s_or_b32 s12, s12, exec_lo
	s_mov_b32 s13, exec_lo
	s_wait_loadcnt 0x0
	v_subrev_nc_u32_e32 v13, s18, v4
	v_mov_b64_e32 v[4:5], v[0:1]
                                        ; implicit-def: $vgpr0_vgpr1
	s_wait_xcnt 0x0
	s_delay_alu instid0(VALU_DEP_2)
	v_cmpx_gt_i32_e64 v2, v13
	s_cbranch_execz .LBB1_3
; %bb.5:                                ;   in Loop: Header=BB1_4 Depth=1
	v_add_nc_u32_e32 v0, s22, v13
	v_add_nc_u64_e32 v[6:7], 4, v[6:7]
	s_and_not1_b32 s12, s12, exec_lo
	s_and_not1_b32 s9, s9, exec_lo
	global_store_b32 v12, v0, s[14:15] scale_offset
	global_load_b32 v14, v[8:9], off
	s_wait_xcnt 0x1
	v_add_nc_u64_e32 v[0:1], 1, v[4:5]
	s_wait_xcnt 0x0
	v_add_nc_u64_e32 v[8:9], 4, v[8:9]
	s_delay_alu instid0(VALU_DEP_2) | instskip(SKIP_1) | instid1(SALU_CYCLE_1)
	v_cmp_ge_i32_e32 vcc_lo, v0, v10
	s_and_b32 s19, vcc_lo, exec_lo
	s_or_b32 s12, s12, s19
	s_wait_loadcnt 0x0
	global_store_b32 v12, v14, s[20:21] scale_offset
	s_wait_xcnt 0x0
	v_add_nc_u32_e32 v12, 1, v12
	s_branch .LBB1_3
.LBB1_6:
	s_or_b32 exec_lo, exec_lo, s8
	s_and_saveexec_b32 s8, s5
	s_delay_alu instid0(SALU_CYCLE_1)
	s_xor_b32 s5, exec_lo, s8
	s_cbranch_execz .LBB1_10
; %bb.7:
	s_mov_b32 s8, exec_lo
	v_cmpx_eq_u32_e64 v13, v2
	s_cbranch_execz .LBB1_9
; %bb.8:
	v_lshl_add_u64 v[0:1], v[4:5], 2, s[16:17]
	s_load_b64 s[12:13], s[0:1], 0x68
	v_add_nc_u32_e32 v4, 1, v4
	global_load_b32 v5, v[0:1], off
	s_wait_kmcnt 0x0
	v_lshl_add_u64 v[0:1], v[2:3], 2, s[12:13]
	s_wait_loadcnt 0x0
	global_store_b32 v[0:1], v5, off
.LBB1_9:
	s_wait_xcnt 0x0
	s_or_b32 exec_lo, exec_lo, s8
	v_mov_b32_e32 v0, v4
.LBB1_10:
	s_or_b32 exec_lo, exec_lo, s5
.LBB1_11:
	s_delay_alu instid0(SALU_CYCLE_1) | instskip(NEXT) | instid1(VALU_DEP_1)
	s_or_b32 exec_lo, exec_lo, s4
	v_cmp_lt_i32_e32 vcc_lo, v0, v10
	s_and_b32 exec_lo, exec_lo, vcc_lo
	s_cbranch_execz .LBB1_14
; %bb.12:
	s_load_b32 s0, s[0:1], 0x60
	v_ashrrev_i32_e32 v1, 31, v0
	s_wait_xcnt 0x0
	s_mov_b32 s1, 0
	s_delay_alu instid0(VALU_DEP_1) | instskip(NEXT) | instid1(VALU_DEP_1)
	v_lshlrev_b64_e32 v[4:5], 2, v[0:1]
	v_add_nc_u64_e32 v[2:3], s[10:11], v[4:5]
	v_add_nc_u64_e32 v[4:5], s[16:17], v[4:5]
	s_wait_loadcnt 0x0
	s_wait_kmcnt 0x0
	v_subrev_nc_u32_e32 v1, s0, v11
	s_sub_co_i32 s0, s0, s18
.LBB1_13:                               ; =>This Inner Loop Header: Depth=1
	global_load_b32 v6, v[2:3], off
	s_wait_xcnt 0x0
	v_add_nc_u64_e32 v[2:3], 4, v[2:3]
	v_add_nc_u32_e32 v0, 1, v0
	s_delay_alu instid0(VALU_DEP_1)
	v_cmp_ge_i32_e32 vcc_lo, v0, v10
	s_or_b32 s1, vcc_lo, s1
	s_wait_loadcnt 0x0
	v_add_nc_u32_e32 v6, s0, v6
	global_store_b32 v1, v6, s[6:7] scale_offset
	global_load_b32 v6, v[4:5], off
	s_wait_xcnt 0x0
	v_add_nc_u64_e32 v[4:5], 4, v[4:5]
	s_wait_loadcnt 0x0
	global_store_b32 v1, v6, s[2:3] scale_offset
	s_wait_xcnt 0x0
	v_add_nc_u32_e32 v1, 1, v1
	s_and_not1_b32 exec_lo, exec_lo, s1
	s_cbranch_execnz .LBB1_13
.LBB1_14:
	s_endpgm
	.section	.rodata,"a",@progbits
	.p2align	6, 0x0
	.amdhsa_kernel _ZN9rocsparseL19csxsldu_fill_kernelILj1024EL20rocsparse_diag_type_1ELS1_1EiiiEEvT4_PKT3_PKS2_PKT2_21rocsparse_index_base_S5_PS2_PS8_SB_S5_SC_SD_SB_SD_
		.amdhsa_group_segment_fixed_size 0
		.amdhsa_private_segment_fixed_size 0
		.amdhsa_kernarg_size 368
		.amdhsa_user_sgpr_count 2
		.amdhsa_user_sgpr_dispatch_ptr 0
		.amdhsa_user_sgpr_queue_ptr 0
		.amdhsa_user_sgpr_kernarg_segment_ptr 1
		.amdhsa_user_sgpr_dispatch_id 0
		.amdhsa_user_sgpr_kernarg_preload_length 0
		.amdhsa_user_sgpr_kernarg_preload_offset 0
		.amdhsa_user_sgpr_private_segment_size 0
		.amdhsa_wavefront_size32 1
		.amdhsa_uses_dynamic_stack 0
		.amdhsa_enable_private_segment 0
		.amdhsa_system_sgpr_workgroup_id_x 1
		.amdhsa_system_sgpr_workgroup_id_y 0
		.amdhsa_system_sgpr_workgroup_id_z 0
		.amdhsa_system_sgpr_workgroup_info 0
		.amdhsa_system_vgpr_workitem_id 0
		.amdhsa_next_free_vgpr 15
		.amdhsa_next_free_sgpr 23
		.amdhsa_named_barrier_count 0
		.amdhsa_reserve_vcc 1
		.amdhsa_float_round_mode_32 0
		.amdhsa_float_round_mode_16_64 0
		.amdhsa_float_denorm_mode_32 3
		.amdhsa_float_denorm_mode_16_64 3
		.amdhsa_fp16_overflow 0
		.amdhsa_memory_ordered 1
		.amdhsa_forward_progress 1
		.amdhsa_inst_pref_size 7
		.amdhsa_round_robin_scheduling 0
		.amdhsa_exception_fp_ieee_invalid_op 0
		.amdhsa_exception_fp_denorm_src 0
		.amdhsa_exception_fp_ieee_div_zero 0
		.amdhsa_exception_fp_ieee_overflow 0
		.amdhsa_exception_fp_ieee_underflow 0
		.amdhsa_exception_fp_ieee_inexact 0
		.amdhsa_exception_int_div_zero 0
	.end_amdhsa_kernel
	.section	.text._ZN9rocsparseL19csxsldu_fill_kernelILj1024EL20rocsparse_diag_type_1ELS1_1EiiiEEvT4_PKT3_PKS2_PKT2_21rocsparse_index_base_S5_PS2_PS8_SB_S5_SC_SD_SB_SD_,"axG",@progbits,_ZN9rocsparseL19csxsldu_fill_kernelILj1024EL20rocsparse_diag_type_1ELS1_1EiiiEEvT4_PKT3_PKS2_PKT2_21rocsparse_index_base_S5_PS2_PS8_SB_S5_SC_SD_SB_SD_,comdat
.Lfunc_end1:
	.size	_ZN9rocsparseL19csxsldu_fill_kernelILj1024EL20rocsparse_diag_type_1ELS1_1EiiiEEvT4_PKT3_PKS2_PKT2_21rocsparse_index_base_S5_PS2_PS8_SB_S5_SC_SD_SB_SD_, .Lfunc_end1-_ZN9rocsparseL19csxsldu_fill_kernelILj1024EL20rocsparse_diag_type_1ELS1_1EiiiEEvT4_PKT3_PKS2_PKT2_21rocsparse_index_base_S5_PS2_PS8_SB_S5_SC_SD_SB_SD_
                                        ; -- End function
	.set _ZN9rocsparseL19csxsldu_fill_kernelILj1024EL20rocsparse_diag_type_1ELS1_1EiiiEEvT4_PKT3_PKS2_PKT2_21rocsparse_index_base_S5_PS2_PS8_SB_S5_SC_SD_SB_SD_.num_vgpr, 15
	.set _ZN9rocsparseL19csxsldu_fill_kernelILj1024EL20rocsparse_diag_type_1ELS1_1EiiiEEvT4_PKT3_PKS2_PKT2_21rocsparse_index_base_S5_PS2_PS8_SB_S5_SC_SD_SB_SD_.num_agpr, 0
	.set _ZN9rocsparseL19csxsldu_fill_kernelILj1024EL20rocsparse_diag_type_1ELS1_1EiiiEEvT4_PKT3_PKS2_PKT2_21rocsparse_index_base_S5_PS2_PS8_SB_S5_SC_SD_SB_SD_.numbered_sgpr, 23
	.set _ZN9rocsparseL19csxsldu_fill_kernelILj1024EL20rocsparse_diag_type_1ELS1_1EiiiEEvT4_PKT3_PKS2_PKT2_21rocsparse_index_base_S5_PS2_PS8_SB_S5_SC_SD_SB_SD_.num_named_barrier, 0
	.set _ZN9rocsparseL19csxsldu_fill_kernelILj1024EL20rocsparse_diag_type_1ELS1_1EiiiEEvT4_PKT3_PKS2_PKT2_21rocsparse_index_base_S5_PS2_PS8_SB_S5_SC_SD_SB_SD_.private_seg_size, 0
	.set _ZN9rocsparseL19csxsldu_fill_kernelILj1024EL20rocsparse_diag_type_1ELS1_1EiiiEEvT4_PKT3_PKS2_PKT2_21rocsparse_index_base_S5_PS2_PS8_SB_S5_SC_SD_SB_SD_.uses_vcc, 1
	.set _ZN9rocsparseL19csxsldu_fill_kernelILj1024EL20rocsparse_diag_type_1ELS1_1EiiiEEvT4_PKT3_PKS2_PKT2_21rocsparse_index_base_S5_PS2_PS8_SB_S5_SC_SD_SB_SD_.uses_flat_scratch, 0
	.set _ZN9rocsparseL19csxsldu_fill_kernelILj1024EL20rocsparse_diag_type_1ELS1_1EiiiEEvT4_PKT3_PKS2_PKT2_21rocsparse_index_base_S5_PS2_PS8_SB_S5_SC_SD_SB_SD_.has_dyn_sized_stack, 0
	.set _ZN9rocsparseL19csxsldu_fill_kernelILj1024EL20rocsparse_diag_type_1ELS1_1EiiiEEvT4_PKT3_PKS2_PKT2_21rocsparse_index_base_S5_PS2_PS8_SB_S5_SC_SD_SB_SD_.has_recursion, 0
	.set _ZN9rocsparseL19csxsldu_fill_kernelILj1024EL20rocsparse_diag_type_1ELS1_1EiiiEEvT4_PKT3_PKS2_PKT2_21rocsparse_index_base_S5_PS2_PS8_SB_S5_SC_SD_SB_SD_.has_indirect_call, 0
	.section	.AMDGPU.csdata,"",@progbits
; Kernel info:
; codeLenInByte = 788
; TotalNumSgprs: 25
; NumVgprs: 15
; ScratchSize: 0
; MemoryBound: 0
; FloatMode: 240
; IeeeMode: 1
; LDSByteSize: 0 bytes/workgroup (compile time only)
; SGPRBlocks: 0
; VGPRBlocks: 0
; NumSGPRsForWavesPerEU: 25
; NumVGPRsForWavesPerEU: 15
; NamedBarCnt: 0
; Occupancy: 16
; WaveLimiterHint : 0
; COMPUTE_PGM_RSRC2:SCRATCH_EN: 0
; COMPUTE_PGM_RSRC2:USER_SGPR: 2
; COMPUTE_PGM_RSRC2:TRAP_HANDLER: 0
; COMPUTE_PGM_RSRC2:TGID_X_EN: 1
; COMPUTE_PGM_RSRC2:TGID_Y_EN: 0
; COMPUTE_PGM_RSRC2:TGID_Z_EN: 0
; COMPUTE_PGM_RSRC2:TIDIG_COMP_CNT: 0
	.section	.text._ZN9rocsparseL19csxsldu_fill_kernelILj1024EL20rocsparse_diag_type_0ELS1_1EiiiEEvT4_PKT3_PKS2_PKT2_21rocsparse_index_base_S5_PS2_PS8_SB_S5_SC_SD_SB_SD_,"axG",@progbits,_ZN9rocsparseL19csxsldu_fill_kernelILj1024EL20rocsparse_diag_type_0ELS1_1EiiiEEvT4_PKT3_PKS2_PKT2_21rocsparse_index_base_S5_PS2_PS8_SB_S5_SC_SD_SB_SD_,comdat
	.globl	_ZN9rocsparseL19csxsldu_fill_kernelILj1024EL20rocsparse_diag_type_0ELS1_1EiiiEEvT4_PKT3_PKS2_PKT2_21rocsparse_index_base_S5_PS2_PS8_SB_S5_SC_SD_SB_SD_ ; -- Begin function _ZN9rocsparseL19csxsldu_fill_kernelILj1024EL20rocsparse_diag_type_0ELS1_1EiiiEEvT4_PKT3_PKS2_PKT2_21rocsparse_index_base_S5_PS2_PS8_SB_S5_SC_SD_SB_SD_
	.p2align	8
	.type	_ZN9rocsparseL19csxsldu_fill_kernelILj1024EL20rocsparse_diag_type_0ELS1_1EiiiEEvT4_PKT3_PKS2_PKT2_21rocsparse_index_base_S5_PS2_PS8_SB_S5_SC_SD_SB_SD_,@function
_ZN9rocsparseL19csxsldu_fill_kernelILj1024EL20rocsparse_diag_type_0ELS1_1EiiiEEvT4_PKT3_PKS2_PKT2_21rocsparse_index_base_S5_PS2_PS8_SB_S5_SC_SD_SB_SD_: ; @_ZN9rocsparseL19csxsldu_fill_kernelILj1024EL20rocsparse_diag_type_0ELS1_1EiiiEEvT4_PKT3_PKS2_PKT2_21rocsparse_index_base_S5_PS2_PS8_SB_S5_SC_SD_SB_SD_
; %bb.0:
	s_clause 0x1
	s_load_b32 s2, s[0:1], 0x7c
	s_load_b32 s3, s[0:1], 0x0
	s_bfe_u32 s4, ttmp6, 0x4000c
	s_and_b32 s5, ttmp6, 15
	s_add_co_i32 s4, s4, 1
	s_getreg_b32 s6, hwreg(HW_REG_IB_STS2, 6, 4)
	s_mul_i32 s4, ttmp9, s4
	s_delay_alu instid0(SALU_CYCLE_1) | instskip(SKIP_4) | instid1(SALU_CYCLE_1)
	s_add_co_i32 s5, s5, s4
	s_wait_kmcnt 0x0
	s_and_b32 s2, s2, 0xffff
	s_cmp_eq_u32 s6, 0
	s_cselect_b32 s4, ttmp9, s5
	v_mad_u32 v2, s4, s2, v0
	s_mov_b32 s2, exec_lo
	s_delay_alu instid0(VALU_DEP_1)
	v_cmpx_gt_i32_e64 s3, v2
	s_cbranch_execz .LBB2_10
; %bb.1:
	s_clause 0x1
	s_load_b128 s[8:11], s[0:1], 0x8
	s_load_b128 s[4:7], s[0:1], 0x48
	v_ashrrev_i32_e32 v3, 31, v2
	s_clause 0x1
	s_load_b96 s[16:18], s[0:1], 0x18
	s_load_b64 s[2:3], s[0:1], 0x58
	s_wait_kmcnt 0x0
	v_lshl_add_u64 v[0:1], v[2:3], 2, s[8:9]
	global_load_b64 v[4:5], v[0:1], off
	global_load_b32 v9, v2, s[4:5] scale_offset
	s_wait_xcnt 0x0
	s_mov_b32 s4, exec_lo
	s_wait_loadcnt 0x1
	v_subrev_nc_u32_e32 v0, s18, v4
	v_subrev_nc_u32_e32 v8, s18, v5
	v_cmpx_lt_i32_e64 v4, v5
	s_cbranch_execz .LBB2_7
; %bb.2:
	s_clause 0x1
	s_load_b128 s[12:15], s[0:1], 0x28
	s_load_b96 s[20:22], s[0:1], 0x38
	v_ashrrev_i32_e32 v1, 31, v0
	s_mov_b32 s5, 0
                                        ; implicit-def: $sgpr8
	s_delay_alu instid0(VALU_DEP_1)
	v_lshlrev_b64_e32 v[6:7], 2, v[0:1]
	s_wait_kmcnt 0x0
	v_lshl_add_u64 v[4:5], v[2:3], 2, s[12:13]
	global_load_b32 v3, v[4:5], off
	s_wait_xcnt 0x0
	v_add_nc_u64_e32 v[4:5], s[10:11], v[6:7]
	v_add_nc_u64_e32 v[6:7], s[16:17], v[6:7]
	s_wait_loadcnt 0x0
	v_subrev_nc_u32_e32 v1, s22, v3
	s_branch .LBB2_4
.LBB2_3:                                ;   in Loop: Header=BB2_4 Depth=1
	s_or_b32 exec_lo, exec_lo, s9
	s_delay_alu instid0(SALU_CYCLE_1) | instskip(NEXT) | instid1(SALU_CYCLE_1)
	s_and_b32 s9, exec_lo, s8
	s_or_b32 s5, s9, s5
	s_delay_alu instid0(SALU_CYCLE_1)
	s_and_not1_b32 exec_lo, exec_lo, s5
	s_cbranch_execz .LBB2_6
.LBB2_4:                                ; =>This Inner Loop Header: Depth=1
	global_load_b32 v3, v[4:5], off
	s_or_b32 s8, s8, exec_lo
	s_mov_b32 s9, exec_lo
	s_wait_loadcnt 0x0
	v_subrev_nc_u32_e32 v3, s18, v3
	s_wait_xcnt 0x0
	s_delay_alu instid0(VALU_DEP_1)
	v_cmpx_ge_i32_e64 v2, v3
	s_cbranch_execz .LBB2_3
; %bb.5:                                ;   in Loop: Header=BB2_4 Depth=1
	v_dual_add_nc_u32 v3, s22, v3 :: v_dual_add_nc_u32 v0, 1, v0
	v_add_nc_u64_e32 v[4:5], 4, v[4:5]
	s_and_not1_b32 s8, s8, exec_lo
	global_store_b32 v1, v3, s[14:15] scale_offset
	global_load_b32 v3, v[6:7], off
	v_cmp_ge_i32_e32 vcc_lo, v0, v8
	s_wait_xcnt 0x0
	v_add_nc_u64_e32 v[6:7], 4, v[6:7]
	s_and_b32 s12, vcc_lo, exec_lo
	s_delay_alu instid0(SALU_CYCLE_1)
	s_or_b32 s8, s8, s12
	s_wait_loadcnt 0x0
	global_store_b32 v1, v3, s[20:21] scale_offset
	s_wait_xcnt 0x0
	v_add_nc_u32_e32 v1, 1, v1
	s_branch .LBB2_3
.LBB2_6:
	s_or_b32 exec_lo, exec_lo, s5
.LBB2_7:
	s_delay_alu instid0(SALU_CYCLE_1) | instskip(NEXT) | instid1(VALU_DEP_2)
	s_or_b32 exec_lo, exec_lo, s4
	v_cmp_lt_i32_e32 vcc_lo, v0, v8
	s_and_b32 exec_lo, exec_lo, vcc_lo
	s_cbranch_execz .LBB2_10
; %bb.8:
	s_load_b32 s0, s[0:1], 0x60
	v_ashrrev_i32_e32 v1, 31, v0
	s_wait_xcnt 0x0
	s_mov_b32 s1, 0
	s_delay_alu instid0(VALU_DEP_1) | instskip(NEXT) | instid1(VALU_DEP_1)
	v_lshlrev_b64_e32 v[4:5], 2, v[0:1]
	v_add_nc_u64_e32 v[2:3], s[10:11], v[4:5]
	v_add_nc_u64_e32 v[4:5], s[16:17], v[4:5]
	s_wait_loadcnt 0x0
	s_wait_kmcnt 0x0
	v_subrev_nc_u32_e32 v1, s0, v9
	s_sub_co_i32 s0, s0, s18
.LBB2_9:                                ; =>This Inner Loop Header: Depth=1
	global_load_b32 v6, v[2:3], off
	s_wait_xcnt 0x0
	v_add_nc_u64_e32 v[2:3], 4, v[2:3]
	v_add_nc_u32_e32 v0, 1, v0
	s_delay_alu instid0(VALU_DEP_1)
	v_cmp_ge_i32_e32 vcc_lo, v0, v8
	s_or_b32 s1, vcc_lo, s1
	s_wait_loadcnt 0x0
	v_add_nc_u32_e32 v6, s0, v6
	global_store_b32 v1, v6, s[6:7] scale_offset
	global_load_b32 v6, v[4:5], off
	s_wait_xcnt 0x0
	v_add_nc_u64_e32 v[4:5], 4, v[4:5]
	s_wait_loadcnt 0x0
	global_store_b32 v1, v6, s[2:3] scale_offset
	s_wait_xcnt 0x0
	v_add_nc_u32_e32 v1, 1, v1
	s_and_not1_b32 exec_lo, exec_lo, s1
	s_cbranch_execnz .LBB2_9
.LBB2_10:
	s_endpgm
	.section	.rodata,"a",@progbits
	.p2align	6, 0x0
	.amdhsa_kernel _ZN9rocsparseL19csxsldu_fill_kernelILj1024EL20rocsparse_diag_type_0ELS1_1EiiiEEvT4_PKT3_PKS2_PKT2_21rocsparse_index_base_S5_PS2_PS8_SB_S5_SC_SD_SB_SD_
		.amdhsa_group_segment_fixed_size 0
		.amdhsa_private_segment_fixed_size 0
		.amdhsa_kernarg_size 368
		.amdhsa_user_sgpr_count 2
		.amdhsa_user_sgpr_dispatch_ptr 0
		.amdhsa_user_sgpr_queue_ptr 0
		.amdhsa_user_sgpr_kernarg_segment_ptr 1
		.amdhsa_user_sgpr_dispatch_id 0
		.amdhsa_user_sgpr_kernarg_preload_length 0
		.amdhsa_user_sgpr_kernarg_preload_offset 0
		.amdhsa_user_sgpr_private_segment_size 0
		.amdhsa_wavefront_size32 1
		.amdhsa_uses_dynamic_stack 0
		.amdhsa_enable_private_segment 0
		.amdhsa_system_sgpr_workgroup_id_x 1
		.amdhsa_system_sgpr_workgroup_id_y 0
		.amdhsa_system_sgpr_workgroup_id_z 0
		.amdhsa_system_sgpr_workgroup_info 0
		.amdhsa_system_vgpr_workitem_id 0
		.amdhsa_next_free_vgpr 10
		.amdhsa_next_free_sgpr 23
		.amdhsa_named_barrier_count 0
		.amdhsa_reserve_vcc 1
		.amdhsa_float_round_mode_32 0
		.amdhsa_float_round_mode_16_64 0
		.amdhsa_float_denorm_mode_32 3
		.amdhsa_float_denorm_mode_16_64 3
		.amdhsa_fp16_overflow 0
		.amdhsa_memory_ordered 1
		.amdhsa_forward_progress 1
		.amdhsa_inst_pref_size 6
		.amdhsa_round_robin_scheduling 0
		.amdhsa_exception_fp_ieee_invalid_op 0
		.amdhsa_exception_fp_denorm_src 0
		.amdhsa_exception_fp_ieee_div_zero 0
		.amdhsa_exception_fp_ieee_overflow 0
		.amdhsa_exception_fp_ieee_underflow 0
		.amdhsa_exception_fp_ieee_inexact 0
		.amdhsa_exception_int_div_zero 0
	.end_amdhsa_kernel
	.section	.text._ZN9rocsparseL19csxsldu_fill_kernelILj1024EL20rocsparse_diag_type_0ELS1_1EiiiEEvT4_PKT3_PKS2_PKT2_21rocsparse_index_base_S5_PS2_PS8_SB_S5_SC_SD_SB_SD_,"axG",@progbits,_ZN9rocsparseL19csxsldu_fill_kernelILj1024EL20rocsparse_diag_type_0ELS1_1EiiiEEvT4_PKT3_PKS2_PKT2_21rocsparse_index_base_S5_PS2_PS8_SB_S5_SC_SD_SB_SD_,comdat
.Lfunc_end2:
	.size	_ZN9rocsparseL19csxsldu_fill_kernelILj1024EL20rocsparse_diag_type_0ELS1_1EiiiEEvT4_PKT3_PKS2_PKT2_21rocsparse_index_base_S5_PS2_PS8_SB_S5_SC_SD_SB_SD_, .Lfunc_end2-_ZN9rocsparseL19csxsldu_fill_kernelILj1024EL20rocsparse_diag_type_0ELS1_1EiiiEEvT4_PKT3_PKS2_PKT2_21rocsparse_index_base_S5_PS2_PS8_SB_S5_SC_SD_SB_SD_
                                        ; -- End function
	.set _ZN9rocsparseL19csxsldu_fill_kernelILj1024EL20rocsparse_diag_type_0ELS1_1EiiiEEvT4_PKT3_PKS2_PKT2_21rocsparse_index_base_S5_PS2_PS8_SB_S5_SC_SD_SB_SD_.num_vgpr, 10
	.set _ZN9rocsparseL19csxsldu_fill_kernelILj1024EL20rocsparse_diag_type_0ELS1_1EiiiEEvT4_PKT3_PKS2_PKT2_21rocsparse_index_base_S5_PS2_PS8_SB_S5_SC_SD_SB_SD_.num_agpr, 0
	.set _ZN9rocsparseL19csxsldu_fill_kernelILj1024EL20rocsparse_diag_type_0ELS1_1EiiiEEvT4_PKT3_PKS2_PKT2_21rocsparse_index_base_S5_PS2_PS8_SB_S5_SC_SD_SB_SD_.numbered_sgpr, 23
	.set _ZN9rocsparseL19csxsldu_fill_kernelILj1024EL20rocsparse_diag_type_0ELS1_1EiiiEEvT4_PKT3_PKS2_PKT2_21rocsparse_index_base_S5_PS2_PS8_SB_S5_SC_SD_SB_SD_.num_named_barrier, 0
	.set _ZN9rocsparseL19csxsldu_fill_kernelILj1024EL20rocsparse_diag_type_0ELS1_1EiiiEEvT4_PKT3_PKS2_PKT2_21rocsparse_index_base_S5_PS2_PS8_SB_S5_SC_SD_SB_SD_.private_seg_size, 0
	.set _ZN9rocsparseL19csxsldu_fill_kernelILj1024EL20rocsparse_diag_type_0ELS1_1EiiiEEvT4_PKT3_PKS2_PKT2_21rocsparse_index_base_S5_PS2_PS8_SB_S5_SC_SD_SB_SD_.uses_vcc, 1
	.set _ZN9rocsparseL19csxsldu_fill_kernelILj1024EL20rocsparse_diag_type_0ELS1_1EiiiEEvT4_PKT3_PKS2_PKT2_21rocsparse_index_base_S5_PS2_PS8_SB_S5_SC_SD_SB_SD_.uses_flat_scratch, 0
	.set _ZN9rocsparseL19csxsldu_fill_kernelILj1024EL20rocsparse_diag_type_0ELS1_1EiiiEEvT4_PKT3_PKS2_PKT2_21rocsparse_index_base_S5_PS2_PS8_SB_S5_SC_SD_SB_SD_.has_dyn_sized_stack, 0
	.set _ZN9rocsparseL19csxsldu_fill_kernelILj1024EL20rocsparse_diag_type_0ELS1_1EiiiEEvT4_PKT3_PKS2_PKT2_21rocsparse_index_base_S5_PS2_PS8_SB_S5_SC_SD_SB_SD_.has_recursion, 0
	.set _ZN9rocsparseL19csxsldu_fill_kernelILj1024EL20rocsparse_diag_type_0ELS1_1EiiiEEvT4_PKT3_PKS2_PKT2_21rocsparse_index_base_S5_PS2_PS8_SB_S5_SC_SD_SB_SD_.has_indirect_call, 0
	.section	.AMDGPU.csdata,"",@progbits
; Kernel info:
; codeLenInByte = 656
; TotalNumSgprs: 25
; NumVgprs: 10
; ScratchSize: 0
; MemoryBound: 0
; FloatMode: 240
; IeeeMode: 1
; LDSByteSize: 0 bytes/workgroup (compile time only)
; SGPRBlocks: 0
; VGPRBlocks: 0
; NumSGPRsForWavesPerEU: 25
; NumVGPRsForWavesPerEU: 10
; NamedBarCnt: 0
; Occupancy: 16
; WaveLimiterHint : 0
; COMPUTE_PGM_RSRC2:SCRATCH_EN: 0
; COMPUTE_PGM_RSRC2:USER_SGPR: 2
; COMPUTE_PGM_RSRC2:TRAP_HANDLER: 0
; COMPUTE_PGM_RSRC2:TGID_X_EN: 1
; COMPUTE_PGM_RSRC2:TGID_Y_EN: 0
; COMPUTE_PGM_RSRC2:TGID_Z_EN: 0
; COMPUTE_PGM_RSRC2:TIDIG_COMP_CNT: 0
	.section	.text._ZN9rocsparseL19csxsldu_fill_kernelILj1024EL20rocsparse_diag_type_1ELS1_0EfiiEEvT4_PKT3_PKS2_PKT2_21rocsparse_index_base_S5_PS2_PS8_SB_S5_SC_SD_SB_SD_,"axG",@progbits,_ZN9rocsparseL19csxsldu_fill_kernelILj1024EL20rocsparse_diag_type_1ELS1_0EfiiEEvT4_PKT3_PKS2_PKT2_21rocsparse_index_base_S5_PS2_PS8_SB_S5_SC_SD_SB_SD_,comdat
	.globl	_ZN9rocsparseL19csxsldu_fill_kernelILj1024EL20rocsparse_diag_type_1ELS1_0EfiiEEvT4_PKT3_PKS2_PKT2_21rocsparse_index_base_S5_PS2_PS8_SB_S5_SC_SD_SB_SD_ ; -- Begin function _ZN9rocsparseL19csxsldu_fill_kernelILj1024EL20rocsparse_diag_type_1ELS1_0EfiiEEvT4_PKT3_PKS2_PKT2_21rocsparse_index_base_S5_PS2_PS8_SB_S5_SC_SD_SB_SD_
	.p2align	8
	.type	_ZN9rocsparseL19csxsldu_fill_kernelILj1024EL20rocsparse_diag_type_1ELS1_0EfiiEEvT4_PKT3_PKS2_PKT2_21rocsparse_index_base_S5_PS2_PS8_SB_S5_SC_SD_SB_SD_,@function
_ZN9rocsparseL19csxsldu_fill_kernelILj1024EL20rocsparse_diag_type_1ELS1_0EfiiEEvT4_PKT3_PKS2_PKT2_21rocsparse_index_base_S5_PS2_PS8_SB_S5_SC_SD_SB_SD_: ; @_ZN9rocsparseL19csxsldu_fill_kernelILj1024EL20rocsparse_diag_type_1ELS1_0EfiiEEvT4_PKT3_PKS2_PKT2_21rocsparse_index_base_S5_PS2_PS8_SB_S5_SC_SD_SB_SD_
; %bb.0:
	s_clause 0x1
	s_load_b32 s2, s[0:1], 0x7c
	s_load_b32 s3, s[0:1], 0x0
	s_bfe_u32 s4, ttmp6, 0x4000c
	s_and_b32 s5, ttmp6, 15
	s_add_co_i32 s4, s4, 1
	s_getreg_b32 s6, hwreg(HW_REG_IB_STS2, 6, 4)
	s_mul_i32 s4, ttmp9, s4
	s_delay_alu instid0(SALU_CYCLE_1) | instskip(SKIP_4) | instid1(SALU_CYCLE_1)
	s_add_co_i32 s5, s5, s4
	s_wait_kmcnt 0x0
	s_and_b32 s2, s2, 0xffff
	s_cmp_eq_u32 s6, 0
	s_cselect_b32 s4, ttmp9, s5
	v_mad_u32 v2, s4, s2, v0
	s_mov_b32 s2, exec_lo
	s_delay_alu instid0(VALU_DEP_1)
	v_cmpx_gt_i32_e64 s3, v2
	s_cbranch_execz .LBB3_10
; %bb.1:
	s_clause 0x1
	s_load_b128 s[8:11], s[0:1], 0x8
	s_load_b128 s[4:7], s[0:1], 0x48
	v_ashrrev_i32_e32 v3, 31, v2
	s_clause 0x1
	s_load_b96 s[16:18], s[0:1], 0x18
	s_load_b64 s[2:3], s[0:1], 0x58
	s_wait_kmcnt 0x0
	v_lshl_add_u64 v[0:1], v[2:3], 2, s[8:9]
	global_load_b64 v[4:5], v[0:1], off
	global_load_b32 v9, v2, s[4:5] scale_offset
	s_wait_xcnt 0x0
	s_mov_b32 s4, exec_lo
	s_wait_loadcnt 0x1
	v_subrev_nc_u32_e32 v0, s18, v4
	v_subrev_nc_u32_e32 v8, s18, v5
	v_cmpx_lt_i32_e64 v4, v5
	s_cbranch_execz .LBB3_7
; %bb.2:
	s_clause 0x1
	s_load_b128 s[12:15], s[0:1], 0x28
	s_load_b96 s[20:22], s[0:1], 0x38
	v_ashrrev_i32_e32 v1, 31, v0
	s_mov_b32 s5, 0
                                        ; implicit-def: $sgpr8
	s_delay_alu instid0(VALU_DEP_1)
	v_lshlrev_b64_e32 v[6:7], 2, v[0:1]
	s_wait_kmcnt 0x0
	v_lshl_add_u64 v[4:5], v[2:3], 2, s[12:13]
	global_load_b32 v3, v[4:5], off
	s_wait_xcnt 0x0
	v_add_nc_u64_e32 v[4:5], s[10:11], v[6:7]
	v_add_nc_u64_e32 v[6:7], s[16:17], v[6:7]
	s_wait_loadcnt 0x0
	v_subrev_nc_u32_e32 v1, s22, v3
	s_branch .LBB3_4
.LBB3_3:                                ;   in Loop: Header=BB3_4 Depth=1
	s_or_b32 exec_lo, exec_lo, s9
	s_delay_alu instid0(SALU_CYCLE_1) | instskip(NEXT) | instid1(SALU_CYCLE_1)
	s_and_b32 s9, exec_lo, s8
	s_or_b32 s5, s9, s5
	s_delay_alu instid0(SALU_CYCLE_1)
	s_and_not1_b32 exec_lo, exec_lo, s5
	s_cbranch_execz .LBB3_6
.LBB3_4:                                ; =>This Inner Loop Header: Depth=1
	global_load_b32 v3, v[4:5], off
	s_or_b32 s8, s8, exec_lo
	s_mov_b32 s9, exec_lo
	s_wait_loadcnt 0x0
	v_subrev_nc_u32_e32 v3, s18, v3
	s_wait_xcnt 0x0
	s_delay_alu instid0(VALU_DEP_1)
	v_cmpx_gt_i32_e64 v2, v3
	s_cbranch_execz .LBB3_3
; %bb.5:                                ;   in Loop: Header=BB3_4 Depth=1
	global_load_b32 v10, v[6:7], off
	v_dual_add_nc_u32 v0, 1, v0 :: v_dual_add_nc_u32 v3, s22, v3
	v_add_nc_u64_e32 v[4:5], 4, v[4:5]
	s_wait_xcnt 0x0
	v_add_nc_u64_e32 v[6:7], 4, v[6:7]
	s_and_not1_b32 s8, s8, exec_lo
	v_cmp_ge_i32_e32 vcc_lo, v0, v8
	global_store_b32 v1, v3, s[14:15] scale_offset
	s_wait_loadcnt 0x0
	global_store_b32 v1, v10, s[20:21] scale_offset
	s_wait_xcnt 0x0
	v_add_nc_u32_e32 v1, 1, v1
	s_and_b32 s12, vcc_lo, exec_lo
	s_delay_alu instid0(SALU_CYCLE_1)
	s_or_b32 s8, s8, s12
	s_branch .LBB3_3
.LBB3_6:
	s_or_b32 exec_lo, exec_lo, s5
.LBB3_7:
	s_delay_alu instid0(SALU_CYCLE_1) | instskip(NEXT) | instid1(VALU_DEP_2)
	s_or_b32 exec_lo, exec_lo, s4
	v_cmp_lt_i32_e32 vcc_lo, v0, v8
	s_and_b32 exec_lo, exec_lo, vcc_lo
	s_cbranch_execz .LBB3_10
; %bb.8:
	s_load_b32 s0, s[0:1], 0x60
	v_ashrrev_i32_e32 v1, 31, v0
	s_wait_xcnt 0x0
	s_mov_b32 s1, 0
	s_delay_alu instid0(VALU_DEP_1) | instskip(NEXT) | instid1(VALU_DEP_1)
	v_lshlrev_b64_e32 v[4:5], 2, v[0:1]
	v_add_nc_u64_e32 v[2:3], s[10:11], v[4:5]
	v_add_nc_u64_e32 v[4:5], s[16:17], v[4:5]
	s_wait_loadcnt 0x0
	s_wait_kmcnt 0x0
	v_subrev_nc_u32_e32 v1, s0, v9
	s_sub_co_i32 s0, s0, s18
.LBB3_9:                                ; =>This Inner Loop Header: Depth=1
	global_load_b32 v6, v[2:3], off
	global_load_b32 v7, v[4:5], off
	v_add_nc_u32_e32 v0, 1, v0
	s_wait_xcnt 0x1
	v_add_nc_u64_e32 v[2:3], 4, v[2:3]
	s_wait_xcnt 0x0
	v_add_nc_u64_e32 v[4:5], 4, v[4:5]
	s_wait_loadcnt 0x1
	v_add_nc_u32_e32 v6, s0, v6
	v_cmp_ge_i32_e32 vcc_lo, v0, v8
	global_store_b32 v1, v6, s[6:7] scale_offset
	s_wait_loadcnt 0x0
	global_store_b32 v1, v7, s[2:3] scale_offset
	s_wait_xcnt 0x0
	v_add_nc_u32_e32 v1, 1, v1
	s_or_b32 s1, vcc_lo, s1
	s_delay_alu instid0(SALU_CYCLE_1)
	s_and_not1_b32 exec_lo, exec_lo, s1
	s_cbranch_execnz .LBB3_9
.LBB3_10:
	s_endpgm
	.section	.rodata,"a",@progbits
	.p2align	6, 0x0
	.amdhsa_kernel _ZN9rocsparseL19csxsldu_fill_kernelILj1024EL20rocsparse_diag_type_1ELS1_0EfiiEEvT4_PKT3_PKS2_PKT2_21rocsparse_index_base_S5_PS2_PS8_SB_S5_SC_SD_SB_SD_
		.amdhsa_group_segment_fixed_size 0
		.amdhsa_private_segment_fixed_size 0
		.amdhsa_kernarg_size 368
		.amdhsa_user_sgpr_count 2
		.amdhsa_user_sgpr_dispatch_ptr 0
		.amdhsa_user_sgpr_queue_ptr 0
		.amdhsa_user_sgpr_kernarg_segment_ptr 1
		.amdhsa_user_sgpr_dispatch_id 0
		.amdhsa_user_sgpr_kernarg_preload_length 0
		.amdhsa_user_sgpr_kernarg_preload_offset 0
		.amdhsa_user_sgpr_private_segment_size 0
		.amdhsa_wavefront_size32 1
		.amdhsa_uses_dynamic_stack 0
		.amdhsa_enable_private_segment 0
		.amdhsa_system_sgpr_workgroup_id_x 1
		.amdhsa_system_sgpr_workgroup_id_y 0
		.amdhsa_system_sgpr_workgroup_id_z 0
		.amdhsa_system_sgpr_workgroup_info 0
		.amdhsa_system_vgpr_workitem_id 0
		.amdhsa_next_free_vgpr 11
		.amdhsa_next_free_sgpr 23
		.amdhsa_named_barrier_count 0
		.amdhsa_reserve_vcc 1
		.amdhsa_float_round_mode_32 0
		.amdhsa_float_round_mode_16_64 0
		.amdhsa_float_denorm_mode_32 3
		.amdhsa_float_denorm_mode_16_64 3
		.amdhsa_fp16_overflow 0
		.amdhsa_memory_ordered 1
		.amdhsa_forward_progress 1
		.amdhsa_inst_pref_size 6
		.amdhsa_round_robin_scheduling 0
		.amdhsa_exception_fp_ieee_invalid_op 0
		.amdhsa_exception_fp_denorm_src 0
		.amdhsa_exception_fp_ieee_div_zero 0
		.amdhsa_exception_fp_ieee_overflow 0
		.amdhsa_exception_fp_ieee_underflow 0
		.amdhsa_exception_fp_ieee_inexact 0
		.amdhsa_exception_int_div_zero 0
	.end_amdhsa_kernel
	.section	.text._ZN9rocsparseL19csxsldu_fill_kernelILj1024EL20rocsparse_diag_type_1ELS1_0EfiiEEvT4_PKT3_PKS2_PKT2_21rocsparse_index_base_S5_PS2_PS8_SB_S5_SC_SD_SB_SD_,"axG",@progbits,_ZN9rocsparseL19csxsldu_fill_kernelILj1024EL20rocsparse_diag_type_1ELS1_0EfiiEEvT4_PKT3_PKS2_PKT2_21rocsparse_index_base_S5_PS2_PS8_SB_S5_SC_SD_SB_SD_,comdat
.Lfunc_end3:
	.size	_ZN9rocsparseL19csxsldu_fill_kernelILj1024EL20rocsparse_diag_type_1ELS1_0EfiiEEvT4_PKT3_PKS2_PKT2_21rocsparse_index_base_S5_PS2_PS8_SB_S5_SC_SD_SB_SD_, .Lfunc_end3-_ZN9rocsparseL19csxsldu_fill_kernelILj1024EL20rocsparse_diag_type_1ELS1_0EfiiEEvT4_PKT3_PKS2_PKT2_21rocsparse_index_base_S5_PS2_PS8_SB_S5_SC_SD_SB_SD_
                                        ; -- End function
	.set _ZN9rocsparseL19csxsldu_fill_kernelILj1024EL20rocsparse_diag_type_1ELS1_0EfiiEEvT4_PKT3_PKS2_PKT2_21rocsparse_index_base_S5_PS2_PS8_SB_S5_SC_SD_SB_SD_.num_vgpr, 11
	.set _ZN9rocsparseL19csxsldu_fill_kernelILj1024EL20rocsparse_diag_type_1ELS1_0EfiiEEvT4_PKT3_PKS2_PKT2_21rocsparse_index_base_S5_PS2_PS8_SB_S5_SC_SD_SB_SD_.num_agpr, 0
	.set _ZN9rocsparseL19csxsldu_fill_kernelILj1024EL20rocsparse_diag_type_1ELS1_0EfiiEEvT4_PKT3_PKS2_PKT2_21rocsparse_index_base_S5_PS2_PS8_SB_S5_SC_SD_SB_SD_.numbered_sgpr, 23
	.set _ZN9rocsparseL19csxsldu_fill_kernelILj1024EL20rocsparse_diag_type_1ELS1_0EfiiEEvT4_PKT3_PKS2_PKT2_21rocsparse_index_base_S5_PS2_PS8_SB_S5_SC_SD_SB_SD_.num_named_barrier, 0
	.set _ZN9rocsparseL19csxsldu_fill_kernelILj1024EL20rocsparse_diag_type_1ELS1_0EfiiEEvT4_PKT3_PKS2_PKT2_21rocsparse_index_base_S5_PS2_PS8_SB_S5_SC_SD_SB_SD_.private_seg_size, 0
	.set _ZN9rocsparseL19csxsldu_fill_kernelILj1024EL20rocsparse_diag_type_1ELS1_0EfiiEEvT4_PKT3_PKS2_PKT2_21rocsparse_index_base_S5_PS2_PS8_SB_S5_SC_SD_SB_SD_.uses_vcc, 1
	.set _ZN9rocsparseL19csxsldu_fill_kernelILj1024EL20rocsparse_diag_type_1ELS1_0EfiiEEvT4_PKT3_PKS2_PKT2_21rocsparse_index_base_S5_PS2_PS8_SB_S5_SC_SD_SB_SD_.uses_flat_scratch, 0
	.set _ZN9rocsparseL19csxsldu_fill_kernelILj1024EL20rocsparse_diag_type_1ELS1_0EfiiEEvT4_PKT3_PKS2_PKT2_21rocsparse_index_base_S5_PS2_PS8_SB_S5_SC_SD_SB_SD_.has_dyn_sized_stack, 0
	.set _ZN9rocsparseL19csxsldu_fill_kernelILj1024EL20rocsparse_diag_type_1ELS1_0EfiiEEvT4_PKT3_PKS2_PKT2_21rocsparse_index_base_S5_PS2_PS8_SB_S5_SC_SD_SB_SD_.has_recursion, 0
	.set _ZN9rocsparseL19csxsldu_fill_kernelILj1024EL20rocsparse_diag_type_1ELS1_0EfiiEEvT4_PKT3_PKS2_PKT2_21rocsparse_index_base_S5_PS2_PS8_SB_S5_SC_SD_SB_SD_.has_indirect_call, 0
	.section	.AMDGPU.csdata,"",@progbits
; Kernel info:
; codeLenInByte = 656
; TotalNumSgprs: 25
; NumVgprs: 11
; ScratchSize: 0
; MemoryBound: 0
; FloatMode: 240
; IeeeMode: 1
; LDSByteSize: 0 bytes/workgroup (compile time only)
; SGPRBlocks: 0
; VGPRBlocks: 0
; NumSGPRsForWavesPerEU: 25
; NumVGPRsForWavesPerEU: 11
; NamedBarCnt: 0
; Occupancy: 16
; WaveLimiterHint : 0
; COMPUTE_PGM_RSRC2:SCRATCH_EN: 0
; COMPUTE_PGM_RSRC2:USER_SGPR: 2
; COMPUTE_PGM_RSRC2:TRAP_HANDLER: 0
; COMPUTE_PGM_RSRC2:TGID_X_EN: 1
; COMPUTE_PGM_RSRC2:TGID_Y_EN: 0
; COMPUTE_PGM_RSRC2:TGID_Z_EN: 0
; COMPUTE_PGM_RSRC2:TIDIG_COMP_CNT: 0
	.section	.text._ZN9rocsparseL19csxsldu_fill_kernelILj1024EL20rocsparse_diag_type_1ELS1_1EfiiEEvT4_PKT3_PKS2_PKT2_21rocsparse_index_base_S5_PS2_PS8_SB_S5_SC_SD_SB_SD_,"axG",@progbits,_ZN9rocsparseL19csxsldu_fill_kernelILj1024EL20rocsparse_diag_type_1ELS1_1EfiiEEvT4_PKT3_PKS2_PKT2_21rocsparse_index_base_S5_PS2_PS8_SB_S5_SC_SD_SB_SD_,comdat
	.globl	_ZN9rocsparseL19csxsldu_fill_kernelILj1024EL20rocsparse_diag_type_1ELS1_1EfiiEEvT4_PKT3_PKS2_PKT2_21rocsparse_index_base_S5_PS2_PS8_SB_S5_SC_SD_SB_SD_ ; -- Begin function _ZN9rocsparseL19csxsldu_fill_kernelILj1024EL20rocsparse_diag_type_1ELS1_1EfiiEEvT4_PKT3_PKS2_PKT2_21rocsparse_index_base_S5_PS2_PS8_SB_S5_SC_SD_SB_SD_
	.p2align	8
	.type	_ZN9rocsparseL19csxsldu_fill_kernelILj1024EL20rocsparse_diag_type_1ELS1_1EfiiEEvT4_PKT3_PKS2_PKT2_21rocsparse_index_base_S5_PS2_PS8_SB_S5_SC_SD_SB_SD_,@function
_ZN9rocsparseL19csxsldu_fill_kernelILj1024EL20rocsparse_diag_type_1ELS1_1EfiiEEvT4_PKT3_PKS2_PKT2_21rocsparse_index_base_S5_PS2_PS8_SB_S5_SC_SD_SB_SD_: ; @_ZN9rocsparseL19csxsldu_fill_kernelILj1024EL20rocsparse_diag_type_1ELS1_1EfiiEEvT4_PKT3_PKS2_PKT2_21rocsparse_index_base_S5_PS2_PS8_SB_S5_SC_SD_SB_SD_
; %bb.0:
	s_clause 0x1
	s_load_b32 s2, s[0:1], 0x7c
	s_load_b32 s3, s[0:1], 0x0
	s_bfe_u32 s4, ttmp6, 0x4000c
	s_and_b32 s5, ttmp6, 15
	s_add_co_i32 s4, s4, 1
	s_getreg_b32 s6, hwreg(HW_REG_IB_STS2, 6, 4)
	s_mul_i32 s4, ttmp9, s4
	s_delay_alu instid0(SALU_CYCLE_1) | instskip(SKIP_4) | instid1(SALU_CYCLE_1)
	s_add_co_i32 s5, s5, s4
	s_wait_kmcnt 0x0
	s_and_b32 s2, s2, 0xffff
	s_cmp_eq_u32 s6, 0
	s_cselect_b32 s4, ttmp9, s5
	v_mad_u32 v2, s4, s2, v0
	s_mov_b32 s2, exec_lo
	s_delay_alu instid0(VALU_DEP_1)
	v_cmpx_gt_i32_e64 s3, v2
	s_cbranch_execz .LBB4_14
; %bb.1:
	s_clause 0x1
	s_load_b128 s[8:11], s[0:1], 0x8
	s_load_b128 s[4:7], s[0:1], 0x48
	v_ashrrev_i32_e32 v3, 31, v2
	s_clause 0x1
	s_load_b96 s[16:18], s[0:1], 0x18
	s_load_b64 s[2:3], s[0:1], 0x58
	s_wait_kmcnt 0x0
	v_lshl_add_u64 v[0:1], v[2:3], 2, s[8:9]
	global_load_b64 v[4:5], v[0:1], off
	global_load_b32 v11, v2, s[4:5] scale_offset
	s_wait_xcnt 0x0
	s_mov_b32 s4, exec_lo
	s_wait_loadcnt 0x1
	v_subrev_nc_u32_e32 v0, s18, v4
	v_subrev_nc_u32_e32 v10, s18, v5
	v_cmpx_lt_i32_e64 v4, v5
	s_cbranch_execz .LBB4_11
; %bb.2:
	s_clause 0x1
	s_load_b128 s[12:15], s[0:1], 0x28
	s_load_b96 s[20:22], s[0:1], 0x38
	v_ashrrev_i32_e32 v1, 31, v0
	s_mov_b32 s8, 0
                                        ; implicit-def: $sgpr5
                                        ; implicit-def: $sgpr9
	s_wait_kmcnt 0x0
	v_lshl_add_u64 v[4:5], v[2:3], 2, s[12:13]
                                        ; implicit-def: $sgpr12
	global_load_b32 v12, v[4:5], off
	s_wait_xcnt 0x0
	v_lshlrev_b64_e32 v[4:5], 2, v[0:1]
	s_delay_alu instid0(VALU_DEP_1)
	v_add_nc_u64_e32 v[6:7], s[10:11], v[4:5]
	v_add_nc_u64_e32 v[8:9], s[16:17], v[4:5]
	s_wait_loadcnt 0x0
	v_subrev_nc_u32_e32 v12, s22, v12
	s_branch .LBB4_4
.LBB4_3:                                ;   in Loop: Header=BB4_4 Depth=1
	s_or_b32 exec_lo, exec_lo, s13
	s_delay_alu instid0(SALU_CYCLE_1) | instskip(NEXT) | instid1(SALU_CYCLE_1)
	s_and_b32 s13, exec_lo, s12
	s_or_b32 s8, s13, s8
	s_and_not1_b32 s5, s5, exec_lo
	s_and_b32 s13, s9, exec_lo
	s_delay_alu instid0(SALU_CYCLE_1)
	s_or_b32 s5, s5, s13
	s_and_not1_b32 exec_lo, exec_lo, s8
	s_cbranch_execz .LBB4_6
.LBB4_4:                                ; =>This Inner Loop Header: Depth=1
	global_load_b32 v4, v[6:7], off
	s_or_b32 s9, s9, exec_lo
	s_or_b32 s12, s12, exec_lo
	s_mov_b32 s13, exec_lo
	s_wait_loadcnt 0x0
	v_subrev_nc_u32_e32 v13, s18, v4
	v_mov_b64_e32 v[4:5], v[0:1]
                                        ; implicit-def: $vgpr0_vgpr1
	s_wait_xcnt 0x0
	s_delay_alu instid0(VALU_DEP_2)
	v_cmpx_gt_i32_e64 v2, v13
	s_cbranch_execz .LBB4_3
; %bb.5:                                ;   in Loop: Header=BB4_4 Depth=1
	global_load_b32 v14, v[8:9], off
	v_add_nc_u64_e32 v[0:1], 1, v[4:5]
	v_add_nc_u32_e32 v15, s22, v13
	v_add_nc_u64_e32 v[6:7], 4, v[6:7]
	s_wait_xcnt 0x0
	v_add_nc_u64_e32 v[8:9], 4, v[8:9]
	s_and_not1_b32 s12, s12, exec_lo
	s_and_not1_b32 s9, s9, exec_lo
	global_store_b32 v12, v15, s[14:15] scale_offset
	s_wait_loadcnt 0x0
	global_store_b32 v12, v14, s[20:21] scale_offset
	v_cmp_ge_i32_e32 vcc_lo, v0, v10
	s_wait_xcnt 0x0
	v_add_nc_u32_e32 v12, 1, v12
	s_and_b32 s19, vcc_lo, exec_lo
	s_delay_alu instid0(SALU_CYCLE_1)
	s_or_b32 s12, s12, s19
	s_branch .LBB4_3
.LBB4_6:
	s_or_b32 exec_lo, exec_lo, s8
	s_and_saveexec_b32 s8, s5
	s_delay_alu instid0(SALU_CYCLE_1)
	s_xor_b32 s5, exec_lo, s8
	s_cbranch_execz .LBB4_10
; %bb.7:
	s_mov_b32 s8, exec_lo
	v_cmpx_eq_u32_e64 v13, v2
	s_cbranch_execz .LBB4_9
; %bb.8:
	v_lshl_add_u64 v[0:1], v[4:5], 2, s[16:17]
	s_load_b64 s[12:13], s[0:1], 0x68
	v_add_nc_u32_e32 v4, 1, v4
	global_load_b32 v5, v[0:1], off
	s_wait_kmcnt 0x0
	v_lshl_add_u64 v[0:1], v[2:3], 2, s[12:13]
	s_wait_loadcnt 0x0
	global_store_b32 v[0:1], v5, off
.LBB4_9:
	s_wait_xcnt 0x0
	s_or_b32 exec_lo, exec_lo, s8
	v_mov_b32_e32 v0, v4
.LBB4_10:
	s_or_b32 exec_lo, exec_lo, s5
.LBB4_11:
	s_delay_alu instid0(SALU_CYCLE_1) | instskip(NEXT) | instid1(VALU_DEP_1)
	s_or_b32 exec_lo, exec_lo, s4
	v_cmp_lt_i32_e32 vcc_lo, v0, v10
	s_and_b32 exec_lo, exec_lo, vcc_lo
	s_cbranch_execz .LBB4_14
; %bb.12:
	s_load_b32 s0, s[0:1], 0x60
	v_ashrrev_i32_e32 v1, 31, v0
	s_wait_xcnt 0x0
	s_mov_b32 s1, 0
	s_delay_alu instid0(VALU_DEP_1) | instskip(NEXT) | instid1(VALU_DEP_1)
	v_lshlrev_b64_e32 v[4:5], 2, v[0:1]
	v_add_nc_u64_e32 v[2:3], s[10:11], v[4:5]
	v_add_nc_u64_e32 v[4:5], s[16:17], v[4:5]
	s_wait_loadcnt 0x0
	s_wait_kmcnt 0x0
	v_subrev_nc_u32_e32 v1, s0, v11
	s_sub_co_i32 s0, s0, s18
.LBB4_13:                               ; =>This Inner Loop Header: Depth=1
	global_load_b32 v6, v[2:3], off
	global_load_b32 v7, v[4:5], off
	v_add_nc_u32_e32 v0, 1, v0
	s_wait_xcnt 0x1
	v_add_nc_u64_e32 v[2:3], 4, v[2:3]
	s_wait_xcnt 0x0
	v_add_nc_u64_e32 v[4:5], 4, v[4:5]
	s_wait_loadcnt 0x1
	v_add_nc_u32_e32 v6, s0, v6
	v_cmp_ge_i32_e32 vcc_lo, v0, v10
	global_store_b32 v1, v6, s[6:7] scale_offset
	s_wait_loadcnt 0x0
	global_store_b32 v1, v7, s[2:3] scale_offset
	s_wait_xcnt 0x0
	v_add_nc_u32_e32 v1, 1, v1
	s_or_b32 s1, vcc_lo, s1
	s_delay_alu instid0(SALU_CYCLE_1)
	s_and_not1_b32 exec_lo, exec_lo, s1
	s_cbranch_execnz .LBB4_13
.LBB4_14:
	s_endpgm
	.section	.rodata,"a",@progbits
	.p2align	6, 0x0
	.amdhsa_kernel _ZN9rocsparseL19csxsldu_fill_kernelILj1024EL20rocsparse_diag_type_1ELS1_1EfiiEEvT4_PKT3_PKS2_PKT2_21rocsparse_index_base_S5_PS2_PS8_SB_S5_SC_SD_SB_SD_
		.amdhsa_group_segment_fixed_size 0
		.amdhsa_private_segment_fixed_size 0
		.amdhsa_kernarg_size 368
		.amdhsa_user_sgpr_count 2
		.amdhsa_user_sgpr_dispatch_ptr 0
		.amdhsa_user_sgpr_queue_ptr 0
		.amdhsa_user_sgpr_kernarg_segment_ptr 1
		.amdhsa_user_sgpr_dispatch_id 0
		.amdhsa_user_sgpr_kernarg_preload_length 0
		.amdhsa_user_sgpr_kernarg_preload_offset 0
		.amdhsa_user_sgpr_private_segment_size 0
		.amdhsa_wavefront_size32 1
		.amdhsa_uses_dynamic_stack 0
		.amdhsa_enable_private_segment 0
		.amdhsa_system_sgpr_workgroup_id_x 1
		.amdhsa_system_sgpr_workgroup_id_y 0
		.amdhsa_system_sgpr_workgroup_id_z 0
		.amdhsa_system_sgpr_workgroup_info 0
		.amdhsa_system_vgpr_workitem_id 0
		.amdhsa_next_free_vgpr 16
		.amdhsa_next_free_sgpr 23
		.amdhsa_named_barrier_count 0
		.amdhsa_reserve_vcc 1
		.amdhsa_float_round_mode_32 0
		.amdhsa_float_round_mode_16_64 0
		.amdhsa_float_denorm_mode_32 3
		.amdhsa_float_denorm_mode_16_64 3
		.amdhsa_fp16_overflow 0
		.amdhsa_memory_ordered 1
		.amdhsa_forward_progress 1
		.amdhsa_inst_pref_size 7
		.amdhsa_round_robin_scheduling 0
		.amdhsa_exception_fp_ieee_invalid_op 0
		.amdhsa_exception_fp_denorm_src 0
		.amdhsa_exception_fp_ieee_div_zero 0
		.amdhsa_exception_fp_ieee_overflow 0
		.amdhsa_exception_fp_ieee_underflow 0
		.amdhsa_exception_fp_ieee_inexact 0
		.amdhsa_exception_int_div_zero 0
	.end_amdhsa_kernel
	.section	.text._ZN9rocsparseL19csxsldu_fill_kernelILj1024EL20rocsparse_diag_type_1ELS1_1EfiiEEvT4_PKT3_PKS2_PKT2_21rocsparse_index_base_S5_PS2_PS8_SB_S5_SC_SD_SB_SD_,"axG",@progbits,_ZN9rocsparseL19csxsldu_fill_kernelILj1024EL20rocsparse_diag_type_1ELS1_1EfiiEEvT4_PKT3_PKS2_PKT2_21rocsparse_index_base_S5_PS2_PS8_SB_S5_SC_SD_SB_SD_,comdat
.Lfunc_end4:
	.size	_ZN9rocsparseL19csxsldu_fill_kernelILj1024EL20rocsparse_diag_type_1ELS1_1EfiiEEvT4_PKT3_PKS2_PKT2_21rocsparse_index_base_S5_PS2_PS8_SB_S5_SC_SD_SB_SD_, .Lfunc_end4-_ZN9rocsparseL19csxsldu_fill_kernelILj1024EL20rocsparse_diag_type_1ELS1_1EfiiEEvT4_PKT3_PKS2_PKT2_21rocsparse_index_base_S5_PS2_PS8_SB_S5_SC_SD_SB_SD_
                                        ; -- End function
	.set _ZN9rocsparseL19csxsldu_fill_kernelILj1024EL20rocsparse_diag_type_1ELS1_1EfiiEEvT4_PKT3_PKS2_PKT2_21rocsparse_index_base_S5_PS2_PS8_SB_S5_SC_SD_SB_SD_.num_vgpr, 16
	.set _ZN9rocsparseL19csxsldu_fill_kernelILj1024EL20rocsparse_diag_type_1ELS1_1EfiiEEvT4_PKT3_PKS2_PKT2_21rocsparse_index_base_S5_PS2_PS8_SB_S5_SC_SD_SB_SD_.num_agpr, 0
	.set _ZN9rocsparseL19csxsldu_fill_kernelILj1024EL20rocsparse_diag_type_1ELS1_1EfiiEEvT4_PKT3_PKS2_PKT2_21rocsparse_index_base_S5_PS2_PS8_SB_S5_SC_SD_SB_SD_.numbered_sgpr, 23
	.set _ZN9rocsparseL19csxsldu_fill_kernelILj1024EL20rocsparse_diag_type_1ELS1_1EfiiEEvT4_PKT3_PKS2_PKT2_21rocsparse_index_base_S5_PS2_PS8_SB_S5_SC_SD_SB_SD_.num_named_barrier, 0
	.set _ZN9rocsparseL19csxsldu_fill_kernelILj1024EL20rocsparse_diag_type_1ELS1_1EfiiEEvT4_PKT3_PKS2_PKT2_21rocsparse_index_base_S5_PS2_PS8_SB_S5_SC_SD_SB_SD_.private_seg_size, 0
	.set _ZN9rocsparseL19csxsldu_fill_kernelILj1024EL20rocsparse_diag_type_1ELS1_1EfiiEEvT4_PKT3_PKS2_PKT2_21rocsparse_index_base_S5_PS2_PS8_SB_S5_SC_SD_SB_SD_.uses_vcc, 1
	.set _ZN9rocsparseL19csxsldu_fill_kernelILj1024EL20rocsparse_diag_type_1ELS1_1EfiiEEvT4_PKT3_PKS2_PKT2_21rocsparse_index_base_S5_PS2_PS8_SB_S5_SC_SD_SB_SD_.uses_flat_scratch, 0
	.set _ZN9rocsparseL19csxsldu_fill_kernelILj1024EL20rocsparse_diag_type_1ELS1_1EfiiEEvT4_PKT3_PKS2_PKT2_21rocsparse_index_base_S5_PS2_PS8_SB_S5_SC_SD_SB_SD_.has_dyn_sized_stack, 0
	.set _ZN9rocsparseL19csxsldu_fill_kernelILj1024EL20rocsparse_diag_type_1ELS1_1EfiiEEvT4_PKT3_PKS2_PKT2_21rocsparse_index_base_S5_PS2_PS8_SB_S5_SC_SD_SB_SD_.has_recursion, 0
	.set _ZN9rocsparseL19csxsldu_fill_kernelILj1024EL20rocsparse_diag_type_1ELS1_1EfiiEEvT4_PKT3_PKS2_PKT2_21rocsparse_index_base_S5_PS2_PS8_SB_S5_SC_SD_SB_SD_.has_indirect_call, 0
	.section	.AMDGPU.csdata,"",@progbits
; Kernel info:
; codeLenInByte = 784
; TotalNumSgprs: 25
; NumVgprs: 16
; ScratchSize: 0
; MemoryBound: 0
; FloatMode: 240
; IeeeMode: 1
; LDSByteSize: 0 bytes/workgroup (compile time only)
; SGPRBlocks: 0
; VGPRBlocks: 0
; NumSGPRsForWavesPerEU: 25
; NumVGPRsForWavesPerEU: 16
; NamedBarCnt: 0
; Occupancy: 16
; WaveLimiterHint : 0
; COMPUTE_PGM_RSRC2:SCRATCH_EN: 0
; COMPUTE_PGM_RSRC2:USER_SGPR: 2
; COMPUTE_PGM_RSRC2:TRAP_HANDLER: 0
; COMPUTE_PGM_RSRC2:TGID_X_EN: 1
; COMPUTE_PGM_RSRC2:TGID_Y_EN: 0
; COMPUTE_PGM_RSRC2:TGID_Z_EN: 0
; COMPUTE_PGM_RSRC2:TIDIG_COMP_CNT: 0
	.section	.text._ZN9rocsparseL19csxsldu_fill_kernelILj1024EL20rocsparse_diag_type_0ELS1_1EfiiEEvT4_PKT3_PKS2_PKT2_21rocsparse_index_base_S5_PS2_PS8_SB_S5_SC_SD_SB_SD_,"axG",@progbits,_ZN9rocsparseL19csxsldu_fill_kernelILj1024EL20rocsparse_diag_type_0ELS1_1EfiiEEvT4_PKT3_PKS2_PKT2_21rocsparse_index_base_S5_PS2_PS8_SB_S5_SC_SD_SB_SD_,comdat
	.globl	_ZN9rocsparseL19csxsldu_fill_kernelILj1024EL20rocsparse_diag_type_0ELS1_1EfiiEEvT4_PKT3_PKS2_PKT2_21rocsparse_index_base_S5_PS2_PS8_SB_S5_SC_SD_SB_SD_ ; -- Begin function _ZN9rocsparseL19csxsldu_fill_kernelILj1024EL20rocsparse_diag_type_0ELS1_1EfiiEEvT4_PKT3_PKS2_PKT2_21rocsparse_index_base_S5_PS2_PS8_SB_S5_SC_SD_SB_SD_
	.p2align	8
	.type	_ZN9rocsparseL19csxsldu_fill_kernelILj1024EL20rocsparse_diag_type_0ELS1_1EfiiEEvT4_PKT3_PKS2_PKT2_21rocsparse_index_base_S5_PS2_PS8_SB_S5_SC_SD_SB_SD_,@function
_ZN9rocsparseL19csxsldu_fill_kernelILj1024EL20rocsparse_diag_type_0ELS1_1EfiiEEvT4_PKT3_PKS2_PKT2_21rocsparse_index_base_S5_PS2_PS8_SB_S5_SC_SD_SB_SD_: ; @_ZN9rocsparseL19csxsldu_fill_kernelILj1024EL20rocsparse_diag_type_0ELS1_1EfiiEEvT4_PKT3_PKS2_PKT2_21rocsparse_index_base_S5_PS2_PS8_SB_S5_SC_SD_SB_SD_
; %bb.0:
	s_clause 0x1
	s_load_b32 s2, s[0:1], 0x7c
	s_load_b32 s3, s[0:1], 0x0
	s_bfe_u32 s4, ttmp6, 0x4000c
	s_and_b32 s5, ttmp6, 15
	s_add_co_i32 s4, s4, 1
	s_getreg_b32 s6, hwreg(HW_REG_IB_STS2, 6, 4)
	s_mul_i32 s4, ttmp9, s4
	s_delay_alu instid0(SALU_CYCLE_1) | instskip(SKIP_4) | instid1(SALU_CYCLE_1)
	s_add_co_i32 s5, s5, s4
	s_wait_kmcnt 0x0
	s_and_b32 s2, s2, 0xffff
	s_cmp_eq_u32 s6, 0
	s_cselect_b32 s4, ttmp9, s5
	v_mad_u32 v2, s4, s2, v0
	s_mov_b32 s2, exec_lo
	s_delay_alu instid0(VALU_DEP_1)
	v_cmpx_gt_i32_e64 s3, v2
	s_cbranch_execz .LBB5_10
; %bb.1:
	s_clause 0x1
	s_load_b128 s[8:11], s[0:1], 0x8
	s_load_b128 s[4:7], s[0:1], 0x48
	v_ashrrev_i32_e32 v3, 31, v2
	s_clause 0x1
	s_load_b96 s[16:18], s[0:1], 0x18
	s_load_b64 s[2:3], s[0:1], 0x58
	s_wait_kmcnt 0x0
	v_lshl_add_u64 v[0:1], v[2:3], 2, s[8:9]
	global_load_b64 v[4:5], v[0:1], off
	global_load_b32 v9, v2, s[4:5] scale_offset
	s_wait_xcnt 0x0
	s_mov_b32 s4, exec_lo
	s_wait_loadcnt 0x1
	v_subrev_nc_u32_e32 v0, s18, v4
	v_subrev_nc_u32_e32 v8, s18, v5
	v_cmpx_lt_i32_e64 v4, v5
	s_cbranch_execz .LBB5_7
; %bb.2:
	s_clause 0x1
	s_load_b128 s[12:15], s[0:1], 0x28
	s_load_b96 s[20:22], s[0:1], 0x38
	v_ashrrev_i32_e32 v1, 31, v0
	s_mov_b32 s5, 0
                                        ; implicit-def: $sgpr8
	s_delay_alu instid0(VALU_DEP_1)
	v_lshlrev_b64_e32 v[6:7], 2, v[0:1]
	s_wait_kmcnt 0x0
	v_lshl_add_u64 v[4:5], v[2:3], 2, s[12:13]
	global_load_b32 v3, v[4:5], off
	s_wait_xcnt 0x0
	v_add_nc_u64_e32 v[4:5], s[10:11], v[6:7]
	v_add_nc_u64_e32 v[6:7], s[16:17], v[6:7]
	s_wait_loadcnt 0x0
	v_subrev_nc_u32_e32 v1, s22, v3
	s_branch .LBB5_4
.LBB5_3:                                ;   in Loop: Header=BB5_4 Depth=1
	s_or_b32 exec_lo, exec_lo, s9
	s_delay_alu instid0(SALU_CYCLE_1) | instskip(NEXT) | instid1(SALU_CYCLE_1)
	s_and_b32 s9, exec_lo, s8
	s_or_b32 s5, s9, s5
	s_delay_alu instid0(SALU_CYCLE_1)
	s_and_not1_b32 exec_lo, exec_lo, s5
	s_cbranch_execz .LBB5_6
.LBB5_4:                                ; =>This Inner Loop Header: Depth=1
	global_load_b32 v3, v[4:5], off
	s_or_b32 s8, s8, exec_lo
	s_mov_b32 s9, exec_lo
	s_wait_loadcnt 0x0
	v_subrev_nc_u32_e32 v3, s18, v3
	s_wait_xcnt 0x0
	s_delay_alu instid0(VALU_DEP_1)
	v_cmpx_ge_i32_e64 v2, v3
	s_cbranch_execz .LBB5_3
; %bb.5:                                ;   in Loop: Header=BB5_4 Depth=1
	global_load_b32 v10, v[6:7], off
	v_dual_add_nc_u32 v0, 1, v0 :: v_dual_add_nc_u32 v3, s22, v3
	v_add_nc_u64_e32 v[4:5], 4, v[4:5]
	s_wait_xcnt 0x0
	v_add_nc_u64_e32 v[6:7], 4, v[6:7]
	s_and_not1_b32 s8, s8, exec_lo
	v_cmp_ge_i32_e32 vcc_lo, v0, v8
	global_store_b32 v1, v3, s[14:15] scale_offset
	s_wait_loadcnt 0x0
	global_store_b32 v1, v10, s[20:21] scale_offset
	s_wait_xcnt 0x0
	v_add_nc_u32_e32 v1, 1, v1
	s_and_b32 s12, vcc_lo, exec_lo
	s_delay_alu instid0(SALU_CYCLE_1)
	s_or_b32 s8, s8, s12
	s_branch .LBB5_3
.LBB5_6:
	s_or_b32 exec_lo, exec_lo, s5
.LBB5_7:
	s_delay_alu instid0(SALU_CYCLE_1) | instskip(NEXT) | instid1(VALU_DEP_2)
	s_or_b32 exec_lo, exec_lo, s4
	v_cmp_lt_i32_e32 vcc_lo, v0, v8
	s_and_b32 exec_lo, exec_lo, vcc_lo
	s_cbranch_execz .LBB5_10
; %bb.8:
	s_load_b32 s0, s[0:1], 0x60
	v_ashrrev_i32_e32 v1, 31, v0
	s_wait_xcnt 0x0
	s_mov_b32 s1, 0
	s_delay_alu instid0(VALU_DEP_1) | instskip(NEXT) | instid1(VALU_DEP_1)
	v_lshlrev_b64_e32 v[4:5], 2, v[0:1]
	v_add_nc_u64_e32 v[2:3], s[10:11], v[4:5]
	v_add_nc_u64_e32 v[4:5], s[16:17], v[4:5]
	s_wait_loadcnt 0x0
	s_wait_kmcnt 0x0
	v_subrev_nc_u32_e32 v1, s0, v9
	s_sub_co_i32 s0, s0, s18
.LBB5_9:                                ; =>This Inner Loop Header: Depth=1
	global_load_b32 v6, v[2:3], off
	global_load_b32 v7, v[4:5], off
	v_add_nc_u32_e32 v0, 1, v0
	s_wait_xcnt 0x1
	v_add_nc_u64_e32 v[2:3], 4, v[2:3]
	s_wait_xcnt 0x0
	v_add_nc_u64_e32 v[4:5], 4, v[4:5]
	s_wait_loadcnt 0x1
	v_add_nc_u32_e32 v6, s0, v6
	v_cmp_ge_i32_e32 vcc_lo, v0, v8
	global_store_b32 v1, v6, s[6:7] scale_offset
	s_wait_loadcnt 0x0
	global_store_b32 v1, v7, s[2:3] scale_offset
	s_wait_xcnt 0x0
	v_add_nc_u32_e32 v1, 1, v1
	s_or_b32 s1, vcc_lo, s1
	s_delay_alu instid0(SALU_CYCLE_1)
	s_and_not1_b32 exec_lo, exec_lo, s1
	s_cbranch_execnz .LBB5_9
.LBB5_10:
	s_endpgm
	.section	.rodata,"a",@progbits
	.p2align	6, 0x0
	.amdhsa_kernel _ZN9rocsparseL19csxsldu_fill_kernelILj1024EL20rocsparse_diag_type_0ELS1_1EfiiEEvT4_PKT3_PKS2_PKT2_21rocsparse_index_base_S5_PS2_PS8_SB_S5_SC_SD_SB_SD_
		.amdhsa_group_segment_fixed_size 0
		.amdhsa_private_segment_fixed_size 0
		.amdhsa_kernarg_size 368
		.amdhsa_user_sgpr_count 2
		.amdhsa_user_sgpr_dispatch_ptr 0
		.amdhsa_user_sgpr_queue_ptr 0
		.amdhsa_user_sgpr_kernarg_segment_ptr 1
		.amdhsa_user_sgpr_dispatch_id 0
		.amdhsa_user_sgpr_kernarg_preload_length 0
		.amdhsa_user_sgpr_kernarg_preload_offset 0
		.amdhsa_user_sgpr_private_segment_size 0
		.amdhsa_wavefront_size32 1
		.amdhsa_uses_dynamic_stack 0
		.amdhsa_enable_private_segment 0
		.amdhsa_system_sgpr_workgroup_id_x 1
		.amdhsa_system_sgpr_workgroup_id_y 0
		.amdhsa_system_sgpr_workgroup_id_z 0
		.amdhsa_system_sgpr_workgroup_info 0
		.amdhsa_system_vgpr_workitem_id 0
		.amdhsa_next_free_vgpr 11
		.amdhsa_next_free_sgpr 23
		.amdhsa_named_barrier_count 0
		.amdhsa_reserve_vcc 1
		.amdhsa_float_round_mode_32 0
		.amdhsa_float_round_mode_16_64 0
		.amdhsa_float_denorm_mode_32 3
		.amdhsa_float_denorm_mode_16_64 3
		.amdhsa_fp16_overflow 0
		.amdhsa_memory_ordered 1
		.amdhsa_forward_progress 1
		.amdhsa_inst_pref_size 6
		.amdhsa_round_robin_scheduling 0
		.amdhsa_exception_fp_ieee_invalid_op 0
		.amdhsa_exception_fp_denorm_src 0
		.amdhsa_exception_fp_ieee_div_zero 0
		.amdhsa_exception_fp_ieee_overflow 0
		.amdhsa_exception_fp_ieee_underflow 0
		.amdhsa_exception_fp_ieee_inexact 0
		.amdhsa_exception_int_div_zero 0
	.end_amdhsa_kernel
	.section	.text._ZN9rocsparseL19csxsldu_fill_kernelILj1024EL20rocsparse_diag_type_0ELS1_1EfiiEEvT4_PKT3_PKS2_PKT2_21rocsparse_index_base_S5_PS2_PS8_SB_S5_SC_SD_SB_SD_,"axG",@progbits,_ZN9rocsparseL19csxsldu_fill_kernelILj1024EL20rocsparse_diag_type_0ELS1_1EfiiEEvT4_PKT3_PKS2_PKT2_21rocsparse_index_base_S5_PS2_PS8_SB_S5_SC_SD_SB_SD_,comdat
.Lfunc_end5:
	.size	_ZN9rocsparseL19csxsldu_fill_kernelILj1024EL20rocsparse_diag_type_0ELS1_1EfiiEEvT4_PKT3_PKS2_PKT2_21rocsparse_index_base_S5_PS2_PS8_SB_S5_SC_SD_SB_SD_, .Lfunc_end5-_ZN9rocsparseL19csxsldu_fill_kernelILj1024EL20rocsparse_diag_type_0ELS1_1EfiiEEvT4_PKT3_PKS2_PKT2_21rocsparse_index_base_S5_PS2_PS8_SB_S5_SC_SD_SB_SD_
                                        ; -- End function
	.set _ZN9rocsparseL19csxsldu_fill_kernelILj1024EL20rocsparse_diag_type_0ELS1_1EfiiEEvT4_PKT3_PKS2_PKT2_21rocsparse_index_base_S5_PS2_PS8_SB_S5_SC_SD_SB_SD_.num_vgpr, 11
	.set _ZN9rocsparseL19csxsldu_fill_kernelILj1024EL20rocsparse_diag_type_0ELS1_1EfiiEEvT4_PKT3_PKS2_PKT2_21rocsparse_index_base_S5_PS2_PS8_SB_S5_SC_SD_SB_SD_.num_agpr, 0
	.set _ZN9rocsparseL19csxsldu_fill_kernelILj1024EL20rocsparse_diag_type_0ELS1_1EfiiEEvT4_PKT3_PKS2_PKT2_21rocsparse_index_base_S5_PS2_PS8_SB_S5_SC_SD_SB_SD_.numbered_sgpr, 23
	.set _ZN9rocsparseL19csxsldu_fill_kernelILj1024EL20rocsparse_diag_type_0ELS1_1EfiiEEvT4_PKT3_PKS2_PKT2_21rocsparse_index_base_S5_PS2_PS8_SB_S5_SC_SD_SB_SD_.num_named_barrier, 0
	.set _ZN9rocsparseL19csxsldu_fill_kernelILj1024EL20rocsparse_diag_type_0ELS1_1EfiiEEvT4_PKT3_PKS2_PKT2_21rocsparse_index_base_S5_PS2_PS8_SB_S5_SC_SD_SB_SD_.private_seg_size, 0
	.set _ZN9rocsparseL19csxsldu_fill_kernelILj1024EL20rocsparse_diag_type_0ELS1_1EfiiEEvT4_PKT3_PKS2_PKT2_21rocsparse_index_base_S5_PS2_PS8_SB_S5_SC_SD_SB_SD_.uses_vcc, 1
	.set _ZN9rocsparseL19csxsldu_fill_kernelILj1024EL20rocsparse_diag_type_0ELS1_1EfiiEEvT4_PKT3_PKS2_PKT2_21rocsparse_index_base_S5_PS2_PS8_SB_S5_SC_SD_SB_SD_.uses_flat_scratch, 0
	.set _ZN9rocsparseL19csxsldu_fill_kernelILj1024EL20rocsparse_diag_type_0ELS1_1EfiiEEvT4_PKT3_PKS2_PKT2_21rocsparse_index_base_S5_PS2_PS8_SB_S5_SC_SD_SB_SD_.has_dyn_sized_stack, 0
	.set _ZN9rocsparseL19csxsldu_fill_kernelILj1024EL20rocsparse_diag_type_0ELS1_1EfiiEEvT4_PKT3_PKS2_PKT2_21rocsparse_index_base_S5_PS2_PS8_SB_S5_SC_SD_SB_SD_.has_recursion, 0
	.set _ZN9rocsparseL19csxsldu_fill_kernelILj1024EL20rocsparse_diag_type_0ELS1_1EfiiEEvT4_PKT3_PKS2_PKT2_21rocsparse_index_base_S5_PS2_PS8_SB_S5_SC_SD_SB_SD_.has_indirect_call, 0
	.section	.AMDGPU.csdata,"",@progbits
; Kernel info:
; codeLenInByte = 656
; TotalNumSgprs: 25
; NumVgprs: 11
; ScratchSize: 0
; MemoryBound: 0
; FloatMode: 240
; IeeeMode: 1
; LDSByteSize: 0 bytes/workgroup (compile time only)
; SGPRBlocks: 0
; VGPRBlocks: 0
; NumSGPRsForWavesPerEU: 25
; NumVGPRsForWavesPerEU: 11
; NamedBarCnt: 0
; Occupancy: 16
; WaveLimiterHint : 0
; COMPUTE_PGM_RSRC2:SCRATCH_EN: 0
; COMPUTE_PGM_RSRC2:USER_SGPR: 2
; COMPUTE_PGM_RSRC2:TRAP_HANDLER: 0
; COMPUTE_PGM_RSRC2:TGID_X_EN: 1
; COMPUTE_PGM_RSRC2:TGID_Y_EN: 0
; COMPUTE_PGM_RSRC2:TGID_Z_EN: 0
; COMPUTE_PGM_RSRC2:TIDIG_COMP_CNT: 0
	.section	.text._ZN9rocsparseL19csxsldu_fill_kernelILj1024EL20rocsparse_diag_type_1ELS1_0EdiiEEvT4_PKT3_PKS2_PKT2_21rocsparse_index_base_S5_PS2_PS8_SB_S5_SC_SD_SB_SD_,"axG",@progbits,_ZN9rocsparseL19csxsldu_fill_kernelILj1024EL20rocsparse_diag_type_1ELS1_0EdiiEEvT4_PKT3_PKS2_PKT2_21rocsparse_index_base_S5_PS2_PS8_SB_S5_SC_SD_SB_SD_,comdat
	.globl	_ZN9rocsparseL19csxsldu_fill_kernelILj1024EL20rocsparse_diag_type_1ELS1_0EdiiEEvT4_PKT3_PKS2_PKT2_21rocsparse_index_base_S5_PS2_PS8_SB_S5_SC_SD_SB_SD_ ; -- Begin function _ZN9rocsparseL19csxsldu_fill_kernelILj1024EL20rocsparse_diag_type_1ELS1_0EdiiEEvT4_PKT3_PKS2_PKT2_21rocsparse_index_base_S5_PS2_PS8_SB_S5_SC_SD_SB_SD_
	.p2align	8
	.type	_ZN9rocsparseL19csxsldu_fill_kernelILj1024EL20rocsparse_diag_type_1ELS1_0EdiiEEvT4_PKT3_PKS2_PKT2_21rocsparse_index_base_S5_PS2_PS8_SB_S5_SC_SD_SB_SD_,@function
_ZN9rocsparseL19csxsldu_fill_kernelILj1024EL20rocsparse_diag_type_1ELS1_0EdiiEEvT4_PKT3_PKS2_PKT2_21rocsparse_index_base_S5_PS2_PS8_SB_S5_SC_SD_SB_SD_: ; @_ZN9rocsparseL19csxsldu_fill_kernelILj1024EL20rocsparse_diag_type_1ELS1_0EdiiEEvT4_PKT3_PKS2_PKT2_21rocsparse_index_base_S5_PS2_PS8_SB_S5_SC_SD_SB_SD_
; %bb.0:
	s_clause 0x1
	s_load_b32 s2, s[0:1], 0x7c
	s_load_b32 s3, s[0:1], 0x0
	s_bfe_u32 s4, ttmp6, 0x4000c
	s_and_b32 s5, ttmp6, 15
	s_add_co_i32 s4, s4, 1
	s_getreg_b32 s6, hwreg(HW_REG_IB_STS2, 6, 4)
	s_mul_i32 s4, ttmp9, s4
	s_delay_alu instid0(SALU_CYCLE_1) | instskip(SKIP_4) | instid1(SALU_CYCLE_1)
	s_add_co_i32 s5, s5, s4
	s_wait_kmcnt 0x0
	s_and_b32 s2, s2, 0xffff
	s_cmp_eq_u32 s6, 0
	s_cselect_b32 s4, ttmp9, s5
	v_mad_u32 v2, s4, s2, v0
	s_mov_b32 s2, exec_lo
	s_delay_alu instid0(VALU_DEP_1)
	v_cmpx_gt_i32_e64 s3, v2
	s_cbranch_execz .LBB6_10
; %bb.1:
	s_clause 0x1
	s_load_b128 s[8:11], s[0:1], 0x8
	s_load_b128 s[4:7], s[0:1], 0x48
	v_ashrrev_i32_e32 v3, 31, v2
	s_clause 0x1
	s_load_b96 s[16:18], s[0:1], 0x18
	s_load_b64 s[2:3], s[0:1], 0x58
	s_wait_kmcnt 0x0
	v_lshl_add_u64 v[0:1], v[2:3], 2, s[8:9]
	global_load_b64 v[4:5], v[0:1], off
	global_load_b32 v9, v2, s[4:5] scale_offset
	s_wait_xcnt 0x0
	s_mov_b32 s4, exec_lo
	s_wait_loadcnt 0x1
	v_subrev_nc_u32_e32 v0, s18, v4
	v_subrev_nc_u32_e32 v8, s18, v5
	v_cmpx_lt_i32_e64 v4, v5
	s_cbranch_execz .LBB6_7
; %bb.2:
	s_clause 0x1
	s_load_b128 s[12:15], s[0:1], 0x28
	s_load_b96 s[20:22], s[0:1], 0x38
	v_ashrrev_i32_e32 v1, 31, v0
	s_mov_b32 s5, 0
                                        ; implicit-def: $sgpr8
	s_delay_alu instid0(VALU_DEP_1)
	v_lshl_add_u64 v[6:7], v[0:1], 3, s[16:17]
	s_wait_kmcnt 0x0
	v_lshl_add_u64 v[4:5], v[2:3], 2, s[12:13]
	global_load_b32 v3, v[4:5], off
	s_wait_xcnt 0x0
	v_lshl_add_u64 v[4:5], v[0:1], 2, s[10:11]
	s_wait_loadcnt 0x0
	v_subrev_nc_u32_e32 v1, s22, v3
	s_branch .LBB6_4
.LBB6_3:                                ;   in Loop: Header=BB6_4 Depth=1
	s_or_b32 exec_lo, exec_lo, s9
	s_delay_alu instid0(SALU_CYCLE_1) | instskip(NEXT) | instid1(SALU_CYCLE_1)
	s_and_b32 s9, exec_lo, s8
	s_or_b32 s5, s9, s5
	s_delay_alu instid0(SALU_CYCLE_1)
	s_and_not1_b32 exec_lo, exec_lo, s5
	s_cbranch_execz .LBB6_6
.LBB6_4:                                ; =>This Inner Loop Header: Depth=1
	global_load_b32 v3, v[4:5], off
	s_or_b32 s8, s8, exec_lo
	s_mov_b32 s9, exec_lo
	s_wait_loadcnt 0x0
	v_subrev_nc_u32_e32 v3, s18, v3
	s_wait_xcnt 0x0
	s_delay_alu instid0(VALU_DEP_1)
	v_cmpx_gt_i32_e64 v2, v3
	s_cbranch_execz .LBB6_3
; %bb.5:                                ;   in Loop: Header=BB6_4 Depth=1
	global_load_b64 v[10:11], v[6:7], off
	v_dual_add_nc_u32 v0, 1, v0 :: v_dual_add_nc_u32 v3, s22, v3
	v_add_nc_u64_e32 v[4:5], 4, v[4:5]
	s_wait_xcnt 0x0
	v_add_nc_u64_e32 v[6:7], 8, v[6:7]
	s_and_not1_b32 s8, s8, exec_lo
	v_cmp_ge_i32_e32 vcc_lo, v0, v8
	global_store_b32 v1, v3, s[14:15] scale_offset
	s_wait_loadcnt 0x0
	global_store_b64 v1, v[10:11], s[20:21] scale_offset
	s_wait_xcnt 0x0
	v_add_nc_u32_e32 v1, 1, v1
	s_and_b32 s12, vcc_lo, exec_lo
	s_delay_alu instid0(SALU_CYCLE_1)
	s_or_b32 s8, s8, s12
	s_branch .LBB6_3
.LBB6_6:
	s_or_b32 exec_lo, exec_lo, s5
.LBB6_7:
	s_delay_alu instid0(SALU_CYCLE_1) | instskip(NEXT) | instid1(VALU_DEP_2)
	s_or_b32 exec_lo, exec_lo, s4
	v_cmp_lt_i32_e32 vcc_lo, v0, v8
	s_and_b32 exec_lo, exec_lo, vcc_lo
	s_cbranch_execz .LBB6_10
; %bb.8:
	s_load_b32 s0, s[0:1], 0x60
	v_ashrrev_i32_e32 v1, 31, v0
	s_wait_xcnt 0x0
	s_mov_b32 s1, 0
	s_delay_alu instid0(VALU_DEP_1)
	v_lshl_add_u64 v[2:3], v[0:1], 2, s[10:11]
	v_lshl_add_u64 v[4:5], v[0:1], 3, s[16:17]
	s_wait_loadcnt 0x0
	s_wait_kmcnt 0x0
	v_subrev_nc_u32_e32 v1, s0, v9
	s_sub_co_i32 s0, s0, s18
.LBB6_9:                                ; =>This Inner Loop Header: Depth=1
	global_load_b32 v9, v[2:3], off
	global_load_b64 v[6:7], v[4:5], off
	v_add_nc_u32_e32 v0, 1, v0
	s_wait_xcnt 0x1
	v_add_nc_u64_e32 v[2:3], 4, v[2:3]
	s_wait_xcnt 0x0
	v_add_nc_u64_e32 v[4:5], 8, v[4:5]
	s_wait_loadcnt 0x1
	v_add_nc_u32_e32 v9, s0, v9
	v_cmp_ge_i32_e32 vcc_lo, v0, v8
	global_store_b32 v1, v9, s[6:7] scale_offset
	s_wait_loadcnt 0x0
	global_store_b64 v1, v[6:7], s[2:3] scale_offset
	s_wait_xcnt 0x0
	v_add_nc_u32_e32 v1, 1, v1
	s_or_b32 s1, vcc_lo, s1
	s_delay_alu instid0(SALU_CYCLE_1)
	s_and_not1_b32 exec_lo, exec_lo, s1
	s_cbranch_execnz .LBB6_9
.LBB6_10:
	s_endpgm
	.section	.rodata,"a",@progbits
	.p2align	6, 0x0
	.amdhsa_kernel _ZN9rocsparseL19csxsldu_fill_kernelILj1024EL20rocsparse_diag_type_1ELS1_0EdiiEEvT4_PKT3_PKS2_PKT2_21rocsparse_index_base_S5_PS2_PS8_SB_S5_SC_SD_SB_SD_
		.amdhsa_group_segment_fixed_size 0
		.amdhsa_private_segment_fixed_size 0
		.amdhsa_kernarg_size 368
		.amdhsa_user_sgpr_count 2
		.amdhsa_user_sgpr_dispatch_ptr 0
		.amdhsa_user_sgpr_queue_ptr 0
		.amdhsa_user_sgpr_kernarg_segment_ptr 1
		.amdhsa_user_sgpr_dispatch_id 0
		.amdhsa_user_sgpr_kernarg_preload_length 0
		.amdhsa_user_sgpr_kernarg_preload_offset 0
		.amdhsa_user_sgpr_private_segment_size 0
		.amdhsa_wavefront_size32 1
		.amdhsa_uses_dynamic_stack 0
		.amdhsa_enable_private_segment 0
		.amdhsa_system_sgpr_workgroup_id_x 1
		.amdhsa_system_sgpr_workgroup_id_y 0
		.amdhsa_system_sgpr_workgroup_id_z 0
		.amdhsa_system_sgpr_workgroup_info 0
		.amdhsa_system_vgpr_workitem_id 0
		.amdhsa_next_free_vgpr 12
		.amdhsa_next_free_sgpr 23
		.amdhsa_named_barrier_count 0
		.amdhsa_reserve_vcc 1
		.amdhsa_float_round_mode_32 0
		.amdhsa_float_round_mode_16_64 0
		.amdhsa_float_denorm_mode_32 3
		.amdhsa_float_denorm_mode_16_64 3
		.amdhsa_fp16_overflow 0
		.amdhsa_memory_ordered 1
		.amdhsa_forward_progress 1
		.amdhsa_inst_pref_size 6
		.amdhsa_round_robin_scheduling 0
		.amdhsa_exception_fp_ieee_invalid_op 0
		.amdhsa_exception_fp_denorm_src 0
		.amdhsa_exception_fp_ieee_div_zero 0
		.amdhsa_exception_fp_ieee_overflow 0
		.amdhsa_exception_fp_ieee_underflow 0
		.amdhsa_exception_fp_ieee_inexact 0
		.amdhsa_exception_int_div_zero 0
	.end_amdhsa_kernel
	.section	.text._ZN9rocsparseL19csxsldu_fill_kernelILj1024EL20rocsparse_diag_type_1ELS1_0EdiiEEvT4_PKT3_PKS2_PKT2_21rocsparse_index_base_S5_PS2_PS8_SB_S5_SC_SD_SB_SD_,"axG",@progbits,_ZN9rocsparseL19csxsldu_fill_kernelILj1024EL20rocsparse_diag_type_1ELS1_0EdiiEEvT4_PKT3_PKS2_PKT2_21rocsparse_index_base_S5_PS2_PS8_SB_S5_SC_SD_SB_SD_,comdat
.Lfunc_end6:
	.size	_ZN9rocsparseL19csxsldu_fill_kernelILj1024EL20rocsparse_diag_type_1ELS1_0EdiiEEvT4_PKT3_PKS2_PKT2_21rocsparse_index_base_S5_PS2_PS8_SB_S5_SC_SD_SB_SD_, .Lfunc_end6-_ZN9rocsparseL19csxsldu_fill_kernelILj1024EL20rocsparse_diag_type_1ELS1_0EdiiEEvT4_PKT3_PKS2_PKT2_21rocsparse_index_base_S5_PS2_PS8_SB_S5_SC_SD_SB_SD_
                                        ; -- End function
	.set _ZN9rocsparseL19csxsldu_fill_kernelILj1024EL20rocsparse_diag_type_1ELS1_0EdiiEEvT4_PKT3_PKS2_PKT2_21rocsparse_index_base_S5_PS2_PS8_SB_S5_SC_SD_SB_SD_.num_vgpr, 12
	.set _ZN9rocsparseL19csxsldu_fill_kernelILj1024EL20rocsparse_diag_type_1ELS1_0EdiiEEvT4_PKT3_PKS2_PKT2_21rocsparse_index_base_S5_PS2_PS8_SB_S5_SC_SD_SB_SD_.num_agpr, 0
	.set _ZN9rocsparseL19csxsldu_fill_kernelILj1024EL20rocsparse_diag_type_1ELS1_0EdiiEEvT4_PKT3_PKS2_PKT2_21rocsparse_index_base_S5_PS2_PS8_SB_S5_SC_SD_SB_SD_.numbered_sgpr, 23
	.set _ZN9rocsparseL19csxsldu_fill_kernelILj1024EL20rocsparse_diag_type_1ELS1_0EdiiEEvT4_PKT3_PKS2_PKT2_21rocsparse_index_base_S5_PS2_PS8_SB_S5_SC_SD_SB_SD_.num_named_barrier, 0
	.set _ZN9rocsparseL19csxsldu_fill_kernelILj1024EL20rocsparse_diag_type_1ELS1_0EdiiEEvT4_PKT3_PKS2_PKT2_21rocsparse_index_base_S5_PS2_PS8_SB_S5_SC_SD_SB_SD_.private_seg_size, 0
	.set _ZN9rocsparseL19csxsldu_fill_kernelILj1024EL20rocsparse_diag_type_1ELS1_0EdiiEEvT4_PKT3_PKS2_PKT2_21rocsparse_index_base_S5_PS2_PS8_SB_S5_SC_SD_SB_SD_.uses_vcc, 1
	.set _ZN9rocsparseL19csxsldu_fill_kernelILj1024EL20rocsparse_diag_type_1ELS1_0EdiiEEvT4_PKT3_PKS2_PKT2_21rocsparse_index_base_S5_PS2_PS8_SB_S5_SC_SD_SB_SD_.uses_flat_scratch, 0
	.set _ZN9rocsparseL19csxsldu_fill_kernelILj1024EL20rocsparse_diag_type_1ELS1_0EdiiEEvT4_PKT3_PKS2_PKT2_21rocsparse_index_base_S5_PS2_PS8_SB_S5_SC_SD_SB_SD_.has_dyn_sized_stack, 0
	.set _ZN9rocsparseL19csxsldu_fill_kernelILj1024EL20rocsparse_diag_type_1ELS1_0EdiiEEvT4_PKT3_PKS2_PKT2_21rocsparse_index_base_S5_PS2_PS8_SB_S5_SC_SD_SB_SD_.has_recursion, 0
	.set _ZN9rocsparseL19csxsldu_fill_kernelILj1024EL20rocsparse_diag_type_1ELS1_0EdiiEEvT4_PKT3_PKS2_PKT2_21rocsparse_index_base_S5_PS2_PS8_SB_S5_SC_SD_SB_SD_.has_indirect_call, 0
	.section	.AMDGPU.csdata,"",@progbits
; Kernel info:
; codeLenInByte = 664
; TotalNumSgprs: 25
; NumVgprs: 12
; ScratchSize: 0
; MemoryBound: 0
; FloatMode: 240
; IeeeMode: 1
; LDSByteSize: 0 bytes/workgroup (compile time only)
; SGPRBlocks: 0
; VGPRBlocks: 0
; NumSGPRsForWavesPerEU: 25
; NumVGPRsForWavesPerEU: 12
; NamedBarCnt: 0
; Occupancy: 16
; WaveLimiterHint : 0
; COMPUTE_PGM_RSRC2:SCRATCH_EN: 0
; COMPUTE_PGM_RSRC2:USER_SGPR: 2
; COMPUTE_PGM_RSRC2:TRAP_HANDLER: 0
; COMPUTE_PGM_RSRC2:TGID_X_EN: 1
; COMPUTE_PGM_RSRC2:TGID_Y_EN: 0
; COMPUTE_PGM_RSRC2:TGID_Z_EN: 0
; COMPUTE_PGM_RSRC2:TIDIG_COMP_CNT: 0
	.section	.text._ZN9rocsparseL19csxsldu_fill_kernelILj1024EL20rocsparse_diag_type_1ELS1_1EdiiEEvT4_PKT3_PKS2_PKT2_21rocsparse_index_base_S5_PS2_PS8_SB_S5_SC_SD_SB_SD_,"axG",@progbits,_ZN9rocsparseL19csxsldu_fill_kernelILj1024EL20rocsparse_diag_type_1ELS1_1EdiiEEvT4_PKT3_PKS2_PKT2_21rocsparse_index_base_S5_PS2_PS8_SB_S5_SC_SD_SB_SD_,comdat
	.globl	_ZN9rocsparseL19csxsldu_fill_kernelILj1024EL20rocsparse_diag_type_1ELS1_1EdiiEEvT4_PKT3_PKS2_PKT2_21rocsparse_index_base_S5_PS2_PS8_SB_S5_SC_SD_SB_SD_ ; -- Begin function _ZN9rocsparseL19csxsldu_fill_kernelILj1024EL20rocsparse_diag_type_1ELS1_1EdiiEEvT4_PKT3_PKS2_PKT2_21rocsparse_index_base_S5_PS2_PS8_SB_S5_SC_SD_SB_SD_
	.p2align	8
	.type	_ZN9rocsparseL19csxsldu_fill_kernelILj1024EL20rocsparse_diag_type_1ELS1_1EdiiEEvT4_PKT3_PKS2_PKT2_21rocsparse_index_base_S5_PS2_PS8_SB_S5_SC_SD_SB_SD_,@function
_ZN9rocsparseL19csxsldu_fill_kernelILj1024EL20rocsparse_diag_type_1ELS1_1EdiiEEvT4_PKT3_PKS2_PKT2_21rocsparse_index_base_S5_PS2_PS8_SB_S5_SC_SD_SB_SD_: ; @_ZN9rocsparseL19csxsldu_fill_kernelILj1024EL20rocsparse_diag_type_1ELS1_1EdiiEEvT4_PKT3_PKS2_PKT2_21rocsparse_index_base_S5_PS2_PS8_SB_S5_SC_SD_SB_SD_
; %bb.0:
	s_clause 0x1
	s_load_b32 s2, s[0:1], 0x7c
	s_load_b32 s3, s[0:1], 0x0
	s_bfe_u32 s4, ttmp6, 0x4000c
	s_and_b32 s5, ttmp6, 15
	s_add_co_i32 s4, s4, 1
	s_getreg_b32 s6, hwreg(HW_REG_IB_STS2, 6, 4)
	s_mul_i32 s4, ttmp9, s4
	s_delay_alu instid0(SALU_CYCLE_1) | instskip(SKIP_4) | instid1(SALU_CYCLE_1)
	s_add_co_i32 s5, s5, s4
	s_wait_kmcnt 0x0
	s_and_b32 s2, s2, 0xffff
	s_cmp_eq_u32 s6, 0
	s_cselect_b32 s4, ttmp9, s5
	v_mad_u32 v2, s4, s2, v0
	s_mov_b32 s2, exec_lo
	s_delay_alu instid0(VALU_DEP_1)
	v_cmpx_gt_i32_e64 s3, v2
	s_cbranch_execz .LBB7_14
; %bb.1:
	s_clause 0x1
	s_load_b128 s[8:11], s[0:1], 0x8
	s_load_b128 s[4:7], s[0:1], 0x48
	v_ashrrev_i32_e32 v3, 31, v2
	s_clause 0x1
	s_load_b96 s[16:18], s[0:1], 0x18
	s_load_b64 s[2:3], s[0:1], 0x58
	s_wait_kmcnt 0x0
	v_lshl_add_u64 v[0:1], v[2:3], 2, s[8:9]
	global_load_b64 v[4:5], v[0:1], off
	global_load_b32 v11, v2, s[4:5] scale_offset
	s_wait_xcnt 0x0
	s_mov_b32 s4, exec_lo
	s_wait_loadcnt 0x1
	v_subrev_nc_u32_e32 v0, s18, v4
	v_subrev_nc_u32_e32 v10, s18, v5
	v_cmpx_lt_i32_e64 v4, v5
	s_cbranch_execz .LBB7_11
; %bb.2:
	s_clause 0x1
	s_load_b128 s[12:15], s[0:1], 0x28
	s_load_b96 s[20:22], s[0:1], 0x38
	v_ashrrev_i32_e32 v1, 31, v0
	s_mov_b32 s8, 0
                                        ; implicit-def: $sgpr5
                                        ; implicit-def: $sgpr9
	s_delay_alu instid0(VALU_DEP_1)
	v_lshl_add_u64 v[6:7], v[0:1], 2, s[10:11]
	v_lshl_add_u64 v[8:9], v[0:1], 3, s[16:17]
	s_wait_kmcnt 0x0
	v_lshl_add_u64 v[4:5], v[2:3], 2, s[12:13]
                                        ; implicit-def: $sgpr12
	global_load_b32 v4, v[4:5], off
	s_wait_loadcnt 0x0
	v_subrev_nc_u32_e32 v12, s22, v4
	s_branch .LBB7_4
.LBB7_3:                                ;   in Loop: Header=BB7_4 Depth=1
	s_or_b32 exec_lo, exec_lo, s13
	s_delay_alu instid0(SALU_CYCLE_1) | instskip(NEXT) | instid1(SALU_CYCLE_1)
	s_and_b32 s13, exec_lo, s12
	s_or_b32 s8, s13, s8
	s_and_not1_b32 s5, s5, exec_lo
	s_and_b32 s13, s9, exec_lo
	s_delay_alu instid0(SALU_CYCLE_1)
	s_or_b32 s5, s5, s13
	s_and_not1_b32 exec_lo, exec_lo, s8
	s_cbranch_execz .LBB7_6
.LBB7_4:                                ; =>This Inner Loop Header: Depth=1
	global_load_b32 v4, v[6:7], off
	s_or_b32 s9, s9, exec_lo
	s_or_b32 s12, s12, exec_lo
	s_mov_b32 s13, exec_lo
	s_wait_loadcnt 0x0
	v_subrev_nc_u32_e32 v13, s18, v4
	v_mov_b64_e32 v[4:5], v[0:1]
                                        ; implicit-def: $vgpr0_vgpr1
	s_wait_xcnt 0x0
	s_delay_alu instid0(VALU_DEP_2)
	v_cmpx_gt_i32_e64 v2, v13
	s_cbranch_execz .LBB7_3
; %bb.5:                                ;   in Loop: Header=BB7_4 Depth=1
	global_load_b64 v[14:15], v[8:9], off
	v_add_nc_u64_e32 v[0:1], 1, v[4:5]
	v_add_nc_u32_e32 v16, s22, v13
	v_add_nc_u64_e32 v[6:7], 4, v[6:7]
	s_wait_xcnt 0x0
	v_add_nc_u64_e32 v[8:9], 8, v[8:9]
	s_and_not1_b32 s12, s12, exec_lo
	s_and_not1_b32 s9, s9, exec_lo
	global_store_b32 v12, v16, s[14:15] scale_offset
	s_wait_loadcnt 0x0
	global_store_b64 v12, v[14:15], s[20:21] scale_offset
	v_cmp_ge_i32_e32 vcc_lo, v0, v10
	s_wait_xcnt 0x0
	v_add_nc_u32_e32 v12, 1, v12
	s_and_b32 s19, vcc_lo, exec_lo
	s_delay_alu instid0(SALU_CYCLE_1)
	s_or_b32 s12, s12, s19
	s_branch .LBB7_3
.LBB7_6:
	s_or_b32 exec_lo, exec_lo, s8
	s_and_saveexec_b32 s8, s5
	s_delay_alu instid0(SALU_CYCLE_1)
	s_xor_b32 s5, exec_lo, s8
	s_cbranch_execz .LBB7_10
; %bb.7:
	s_mov_b32 s8, exec_lo
	v_cmpx_eq_u32_e64 v13, v2
	s_cbranch_execz .LBB7_9
; %bb.8:
	v_lshl_add_u64 v[0:1], v[4:5], 3, s[16:17]
	s_load_b64 s[12:13], s[0:1], 0x68
	v_add_nc_u32_e32 v4, 1, v4
	global_load_b64 v[0:1], v[0:1], off
	s_wait_kmcnt 0x0
	v_lshl_add_u64 v[2:3], v[2:3], 3, s[12:13]
	s_wait_loadcnt 0x0
	global_store_b64 v[2:3], v[0:1], off
.LBB7_9:
	s_wait_xcnt 0x0
	s_or_b32 exec_lo, exec_lo, s8
	v_mov_b32_e32 v0, v4
.LBB7_10:
	s_or_b32 exec_lo, exec_lo, s5
.LBB7_11:
	s_delay_alu instid0(SALU_CYCLE_1) | instskip(NEXT) | instid1(VALU_DEP_1)
	s_or_b32 exec_lo, exec_lo, s4
	v_cmp_lt_i32_e32 vcc_lo, v0, v10
	s_and_b32 exec_lo, exec_lo, vcc_lo
	s_cbranch_execz .LBB7_14
; %bb.12:
	s_load_b32 s0, s[0:1], 0x60
	v_ashrrev_i32_e32 v1, 31, v0
	s_wait_xcnt 0x0
	s_mov_b32 s1, 0
	s_delay_alu instid0(VALU_DEP_1)
	v_lshl_add_u64 v[2:3], v[0:1], 2, s[10:11]
	v_lshl_add_u64 v[4:5], v[0:1], 3, s[16:17]
	s_wait_loadcnt 0x0
	s_wait_kmcnt 0x0
	v_subrev_nc_u32_e32 v1, s0, v11
	s_sub_co_i32 s0, s0, s18
.LBB7_13:                               ; =>This Inner Loop Header: Depth=1
	global_load_b32 v8, v[2:3], off
	global_load_b64 v[6:7], v[4:5], off
	v_add_nc_u32_e32 v0, 1, v0
	s_wait_xcnt 0x1
	v_add_nc_u64_e32 v[2:3], 4, v[2:3]
	s_wait_xcnt 0x0
	v_add_nc_u64_e32 v[4:5], 8, v[4:5]
	s_wait_loadcnt 0x1
	v_add_nc_u32_e32 v8, s0, v8
	global_store_b32 v1, v8, s[6:7] scale_offset
	s_wait_loadcnt 0x0
	global_store_b64 v1, v[6:7], s[2:3] scale_offset
	s_wait_xcnt 0x0
	v_add_nc_u32_e32 v1, 1, v1
	v_cmp_ge_i32_e32 vcc_lo, v0, v10
	s_or_b32 s1, vcc_lo, s1
	s_delay_alu instid0(SALU_CYCLE_1)
	s_and_not1_b32 exec_lo, exec_lo, s1
	s_cbranch_execnz .LBB7_13
.LBB7_14:
	s_endpgm
	.section	.rodata,"a",@progbits
	.p2align	6, 0x0
	.amdhsa_kernel _ZN9rocsparseL19csxsldu_fill_kernelILj1024EL20rocsparse_diag_type_1ELS1_1EdiiEEvT4_PKT3_PKS2_PKT2_21rocsparse_index_base_S5_PS2_PS8_SB_S5_SC_SD_SB_SD_
		.amdhsa_group_segment_fixed_size 0
		.amdhsa_private_segment_fixed_size 0
		.amdhsa_kernarg_size 368
		.amdhsa_user_sgpr_count 2
		.amdhsa_user_sgpr_dispatch_ptr 0
		.amdhsa_user_sgpr_queue_ptr 0
		.amdhsa_user_sgpr_kernarg_segment_ptr 1
		.amdhsa_user_sgpr_dispatch_id 0
		.amdhsa_user_sgpr_kernarg_preload_length 0
		.amdhsa_user_sgpr_kernarg_preload_offset 0
		.amdhsa_user_sgpr_private_segment_size 0
		.amdhsa_wavefront_size32 1
		.amdhsa_uses_dynamic_stack 0
		.amdhsa_enable_private_segment 0
		.amdhsa_system_sgpr_workgroup_id_x 1
		.amdhsa_system_sgpr_workgroup_id_y 0
		.amdhsa_system_sgpr_workgroup_id_z 0
		.amdhsa_system_sgpr_workgroup_info 0
		.amdhsa_system_vgpr_workitem_id 0
		.amdhsa_next_free_vgpr 17
		.amdhsa_next_free_sgpr 23
		.amdhsa_named_barrier_count 0
		.amdhsa_reserve_vcc 1
		.amdhsa_float_round_mode_32 0
		.amdhsa_float_round_mode_16_64 0
		.amdhsa_float_denorm_mode_32 3
		.amdhsa_float_denorm_mode_16_64 3
		.amdhsa_fp16_overflow 0
		.amdhsa_memory_ordered 1
		.amdhsa_forward_progress 1
		.amdhsa_inst_pref_size 7
		.amdhsa_round_robin_scheduling 0
		.amdhsa_exception_fp_ieee_invalid_op 0
		.amdhsa_exception_fp_denorm_src 0
		.amdhsa_exception_fp_ieee_div_zero 0
		.amdhsa_exception_fp_ieee_overflow 0
		.amdhsa_exception_fp_ieee_underflow 0
		.amdhsa_exception_fp_ieee_inexact 0
		.amdhsa_exception_int_div_zero 0
	.end_amdhsa_kernel
	.section	.text._ZN9rocsparseL19csxsldu_fill_kernelILj1024EL20rocsparse_diag_type_1ELS1_1EdiiEEvT4_PKT3_PKS2_PKT2_21rocsparse_index_base_S5_PS2_PS8_SB_S5_SC_SD_SB_SD_,"axG",@progbits,_ZN9rocsparseL19csxsldu_fill_kernelILj1024EL20rocsparse_diag_type_1ELS1_1EdiiEEvT4_PKT3_PKS2_PKT2_21rocsparse_index_base_S5_PS2_PS8_SB_S5_SC_SD_SB_SD_,comdat
.Lfunc_end7:
	.size	_ZN9rocsparseL19csxsldu_fill_kernelILj1024EL20rocsparse_diag_type_1ELS1_1EdiiEEvT4_PKT3_PKS2_PKT2_21rocsparse_index_base_S5_PS2_PS8_SB_S5_SC_SD_SB_SD_, .Lfunc_end7-_ZN9rocsparseL19csxsldu_fill_kernelILj1024EL20rocsparse_diag_type_1ELS1_1EdiiEEvT4_PKT3_PKS2_PKT2_21rocsparse_index_base_S5_PS2_PS8_SB_S5_SC_SD_SB_SD_
                                        ; -- End function
	.set _ZN9rocsparseL19csxsldu_fill_kernelILj1024EL20rocsparse_diag_type_1ELS1_1EdiiEEvT4_PKT3_PKS2_PKT2_21rocsparse_index_base_S5_PS2_PS8_SB_S5_SC_SD_SB_SD_.num_vgpr, 17
	.set _ZN9rocsparseL19csxsldu_fill_kernelILj1024EL20rocsparse_diag_type_1ELS1_1EdiiEEvT4_PKT3_PKS2_PKT2_21rocsparse_index_base_S5_PS2_PS8_SB_S5_SC_SD_SB_SD_.num_agpr, 0
	.set _ZN9rocsparseL19csxsldu_fill_kernelILj1024EL20rocsparse_diag_type_1ELS1_1EdiiEEvT4_PKT3_PKS2_PKT2_21rocsparse_index_base_S5_PS2_PS8_SB_S5_SC_SD_SB_SD_.numbered_sgpr, 23
	.set _ZN9rocsparseL19csxsldu_fill_kernelILj1024EL20rocsparse_diag_type_1ELS1_1EdiiEEvT4_PKT3_PKS2_PKT2_21rocsparse_index_base_S5_PS2_PS8_SB_S5_SC_SD_SB_SD_.num_named_barrier, 0
	.set _ZN9rocsparseL19csxsldu_fill_kernelILj1024EL20rocsparse_diag_type_1ELS1_1EdiiEEvT4_PKT3_PKS2_PKT2_21rocsparse_index_base_S5_PS2_PS8_SB_S5_SC_SD_SB_SD_.private_seg_size, 0
	.set _ZN9rocsparseL19csxsldu_fill_kernelILj1024EL20rocsparse_diag_type_1ELS1_1EdiiEEvT4_PKT3_PKS2_PKT2_21rocsparse_index_base_S5_PS2_PS8_SB_S5_SC_SD_SB_SD_.uses_vcc, 1
	.set _ZN9rocsparseL19csxsldu_fill_kernelILj1024EL20rocsparse_diag_type_1ELS1_1EdiiEEvT4_PKT3_PKS2_PKT2_21rocsparse_index_base_S5_PS2_PS8_SB_S5_SC_SD_SB_SD_.uses_flat_scratch, 0
	.set _ZN9rocsparseL19csxsldu_fill_kernelILj1024EL20rocsparse_diag_type_1ELS1_1EdiiEEvT4_PKT3_PKS2_PKT2_21rocsparse_index_base_S5_PS2_PS8_SB_S5_SC_SD_SB_SD_.has_dyn_sized_stack, 0
	.set _ZN9rocsparseL19csxsldu_fill_kernelILj1024EL20rocsparse_diag_type_1ELS1_1EdiiEEvT4_PKT3_PKS2_PKT2_21rocsparse_index_base_S5_PS2_PS8_SB_S5_SC_SD_SB_SD_.has_recursion, 0
	.set _ZN9rocsparseL19csxsldu_fill_kernelILj1024EL20rocsparse_diag_type_1ELS1_1EdiiEEvT4_PKT3_PKS2_PKT2_21rocsparse_index_base_S5_PS2_PS8_SB_S5_SC_SD_SB_SD_.has_indirect_call, 0
	.section	.AMDGPU.csdata,"",@progbits
; Kernel info:
; codeLenInByte = 788
; TotalNumSgprs: 25
; NumVgprs: 17
; ScratchSize: 0
; MemoryBound: 0
; FloatMode: 240
; IeeeMode: 1
; LDSByteSize: 0 bytes/workgroup (compile time only)
; SGPRBlocks: 0
; VGPRBlocks: 1
; NumSGPRsForWavesPerEU: 25
; NumVGPRsForWavesPerEU: 17
; NamedBarCnt: 0
; Occupancy: 16
; WaveLimiterHint : 0
; COMPUTE_PGM_RSRC2:SCRATCH_EN: 0
; COMPUTE_PGM_RSRC2:USER_SGPR: 2
; COMPUTE_PGM_RSRC2:TRAP_HANDLER: 0
; COMPUTE_PGM_RSRC2:TGID_X_EN: 1
; COMPUTE_PGM_RSRC2:TGID_Y_EN: 0
; COMPUTE_PGM_RSRC2:TGID_Z_EN: 0
; COMPUTE_PGM_RSRC2:TIDIG_COMP_CNT: 0
	.section	.text._ZN9rocsparseL19csxsldu_fill_kernelILj1024EL20rocsparse_diag_type_0ELS1_1EdiiEEvT4_PKT3_PKS2_PKT2_21rocsparse_index_base_S5_PS2_PS8_SB_S5_SC_SD_SB_SD_,"axG",@progbits,_ZN9rocsparseL19csxsldu_fill_kernelILj1024EL20rocsparse_diag_type_0ELS1_1EdiiEEvT4_PKT3_PKS2_PKT2_21rocsparse_index_base_S5_PS2_PS8_SB_S5_SC_SD_SB_SD_,comdat
	.globl	_ZN9rocsparseL19csxsldu_fill_kernelILj1024EL20rocsparse_diag_type_0ELS1_1EdiiEEvT4_PKT3_PKS2_PKT2_21rocsparse_index_base_S5_PS2_PS8_SB_S5_SC_SD_SB_SD_ ; -- Begin function _ZN9rocsparseL19csxsldu_fill_kernelILj1024EL20rocsparse_diag_type_0ELS1_1EdiiEEvT4_PKT3_PKS2_PKT2_21rocsparse_index_base_S5_PS2_PS8_SB_S5_SC_SD_SB_SD_
	.p2align	8
	.type	_ZN9rocsparseL19csxsldu_fill_kernelILj1024EL20rocsparse_diag_type_0ELS1_1EdiiEEvT4_PKT3_PKS2_PKT2_21rocsparse_index_base_S5_PS2_PS8_SB_S5_SC_SD_SB_SD_,@function
_ZN9rocsparseL19csxsldu_fill_kernelILj1024EL20rocsparse_diag_type_0ELS1_1EdiiEEvT4_PKT3_PKS2_PKT2_21rocsparse_index_base_S5_PS2_PS8_SB_S5_SC_SD_SB_SD_: ; @_ZN9rocsparseL19csxsldu_fill_kernelILj1024EL20rocsparse_diag_type_0ELS1_1EdiiEEvT4_PKT3_PKS2_PKT2_21rocsparse_index_base_S5_PS2_PS8_SB_S5_SC_SD_SB_SD_
; %bb.0:
	s_clause 0x1
	s_load_b32 s2, s[0:1], 0x7c
	s_load_b32 s3, s[0:1], 0x0
	s_bfe_u32 s4, ttmp6, 0x4000c
	s_and_b32 s5, ttmp6, 15
	s_add_co_i32 s4, s4, 1
	s_getreg_b32 s6, hwreg(HW_REG_IB_STS2, 6, 4)
	s_mul_i32 s4, ttmp9, s4
	s_delay_alu instid0(SALU_CYCLE_1) | instskip(SKIP_4) | instid1(SALU_CYCLE_1)
	s_add_co_i32 s5, s5, s4
	s_wait_kmcnt 0x0
	s_and_b32 s2, s2, 0xffff
	s_cmp_eq_u32 s6, 0
	s_cselect_b32 s4, ttmp9, s5
	v_mad_u32 v2, s4, s2, v0
	s_mov_b32 s2, exec_lo
	s_delay_alu instid0(VALU_DEP_1)
	v_cmpx_gt_i32_e64 s3, v2
	s_cbranch_execz .LBB8_10
; %bb.1:
	s_clause 0x1
	s_load_b128 s[8:11], s[0:1], 0x8
	s_load_b128 s[4:7], s[0:1], 0x48
	v_ashrrev_i32_e32 v3, 31, v2
	s_clause 0x1
	s_load_b96 s[16:18], s[0:1], 0x18
	s_load_b64 s[2:3], s[0:1], 0x58
	s_wait_kmcnt 0x0
	v_lshl_add_u64 v[0:1], v[2:3], 2, s[8:9]
	global_load_b64 v[4:5], v[0:1], off
	global_load_b32 v9, v2, s[4:5] scale_offset
	s_wait_xcnt 0x0
	s_mov_b32 s4, exec_lo
	s_wait_loadcnt 0x1
	v_subrev_nc_u32_e32 v0, s18, v4
	v_subrev_nc_u32_e32 v8, s18, v5
	v_cmpx_lt_i32_e64 v4, v5
	s_cbranch_execz .LBB8_7
; %bb.2:
	s_clause 0x1
	s_load_b128 s[12:15], s[0:1], 0x28
	s_load_b96 s[20:22], s[0:1], 0x38
	v_ashrrev_i32_e32 v1, 31, v0
	s_mov_b32 s5, 0
                                        ; implicit-def: $sgpr8
	s_delay_alu instid0(VALU_DEP_1)
	v_lshl_add_u64 v[6:7], v[0:1], 3, s[16:17]
	s_wait_kmcnt 0x0
	v_lshl_add_u64 v[4:5], v[2:3], 2, s[12:13]
	global_load_b32 v3, v[4:5], off
	s_wait_xcnt 0x0
	v_lshl_add_u64 v[4:5], v[0:1], 2, s[10:11]
	s_wait_loadcnt 0x0
	v_subrev_nc_u32_e32 v1, s22, v3
	s_branch .LBB8_4
.LBB8_3:                                ;   in Loop: Header=BB8_4 Depth=1
	s_or_b32 exec_lo, exec_lo, s9
	s_delay_alu instid0(SALU_CYCLE_1) | instskip(NEXT) | instid1(SALU_CYCLE_1)
	s_and_b32 s9, exec_lo, s8
	s_or_b32 s5, s9, s5
	s_delay_alu instid0(SALU_CYCLE_1)
	s_and_not1_b32 exec_lo, exec_lo, s5
	s_cbranch_execz .LBB8_6
.LBB8_4:                                ; =>This Inner Loop Header: Depth=1
	global_load_b32 v3, v[4:5], off
	s_or_b32 s8, s8, exec_lo
	s_mov_b32 s9, exec_lo
	s_wait_loadcnt 0x0
	v_subrev_nc_u32_e32 v3, s18, v3
	s_wait_xcnt 0x0
	s_delay_alu instid0(VALU_DEP_1)
	v_cmpx_ge_i32_e64 v2, v3
	s_cbranch_execz .LBB8_3
; %bb.5:                                ;   in Loop: Header=BB8_4 Depth=1
	global_load_b64 v[10:11], v[6:7], off
	v_dual_add_nc_u32 v0, 1, v0 :: v_dual_add_nc_u32 v3, s22, v3
	v_add_nc_u64_e32 v[4:5], 4, v[4:5]
	s_wait_xcnt 0x0
	v_add_nc_u64_e32 v[6:7], 8, v[6:7]
	s_and_not1_b32 s8, s8, exec_lo
	v_cmp_ge_i32_e32 vcc_lo, v0, v8
	global_store_b32 v1, v3, s[14:15] scale_offset
	s_wait_loadcnt 0x0
	global_store_b64 v1, v[10:11], s[20:21] scale_offset
	s_wait_xcnt 0x0
	v_add_nc_u32_e32 v1, 1, v1
	s_and_b32 s12, vcc_lo, exec_lo
	s_delay_alu instid0(SALU_CYCLE_1)
	s_or_b32 s8, s8, s12
	s_branch .LBB8_3
.LBB8_6:
	s_or_b32 exec_lo, exec_lo, s5
.LBB8_7:
	s_delay_alu instid0(SALU_CYCLE_1) | instskip(NEXT) | instid1(VALU_DEP_2)
	s_or_b32 exec_lo, exec_lo, s4
	v_cmp_lt_i32_e32 vcc_lo, v0, v8
	s_and_b32 exec_lo, exec_lo, vcc_lo
	s_cbranch_execz .LBB8_10
; %bb.8:
	s_load_b32 s0, s[0:1], 0x60
	v_ashrrev_i32_e32 v1, 31, v0
	s_wait_xcnt 0x0
	s_mov_b32 s1, 0
	s_delay_alu instid0(VALU_DEP_1)
	v_lshl_add_u64 v[2:3], v[0:1], 2, s[10:11]
	v_lshl_add_u64 v[4:5], v[0:1], 3, s[16:17]
	s_wait_loadcnt 0x0
	s_wait_kmcnt 0x0
	v_subrev_nc_u32_e32 v1, s0, v9
	s_sub_co_i32 s0, s0, s18
.LBB8_9:                                ; =>This Inner Loop Header: Depth=1
	global_load_b32 v9, v[2:3], off
	global_load_b64 v[6:7], v[4:5], off
	v_add_nc_u32_e32 v0, 1, v0
	s_wait_xcnt 0x1
	v_add_nc_u64_e32 v[2:3], 4, v[2:3]
	s_wait_xcnt 0x0
	v_add_nc_u64_e32 v[4:5], 8, v[4:5]
	s_wait_loadcnt 0x1
	v_add_nc_u32_e32 v9, s0, v9
	v_cmp_ge_i32_e32 vcc_lo, v0, v8
	global_store_b32 v1, v9, s[6:7] scale_offset
	s_wait_loadcnt 0x0
	global_store_b64 v1, v[6:7], s[2:3] scale_offset
	s_wait_xcnt 0x0
	v_add_nc_u32_e32 v1, 1, v1
	s_or_b32 s1, vcc_lo, s1
	s_delay_alu instid0(SALU_CYCLE_1)
	s_and_not1_b32 exec_lo, exec_lo, s1
	s_cbranch_execnz .LBB8_9
.LBB8_10:
	s_endpgm
	.section	.rodata,"a",@progbits
	.p2align	6, 0x0
	.amdhsa_kernel _ZN9rocsparseL19csxsldu_fill_kernelILj1024EL20rocsparse_diag_type_0ELS1_1EdiiEEvT4_PKT3_PKS2_PKT2_21rocsparse_index_base_S5_PS2_PS8_SB_S5_SC_SD_SB_SD_
		.amdhsa_group_segment_fixed_size 0
		.amdhsa_private_segment_fixed_size 0
		.amdhsa_kernarg_size 368
		.amdhsa_user_sgpr_count 2
		.amdhsa_user_sgpr_dispatch_ptr 0
		.amdhsa_user_sgpr_queue_ptr 0
		.amdhsa_user_sgpr_kernarg_segment_ptr 1
		.amdhsa_user_sgpr_dispatch_id 0
		.amdhsa_user_sgpr_kernarg_preload_length 0
		.amdhsa_user_sgpr_kernarg_preload_offset 0
		.amdhsa_user_sgpr_private_segment_size 0
		.amdhsa_wavefront_size32 1
		.amdhsa_uses_dynamic_stack 0
		.amdhsa_enable_private_segment 0
		.amdhsa_system_sgpr_workgroup_id_x 1
		.amdhsa_system_sgpr_workgroup_id_y 0
		.amdhsa_system_sgpr_workgroup_id_z 0
		.amdhsa_system_sgpr_workgroup_info 0
		.amdhsa_system_vgpr_workitem_id 0
		.amdhsa_next_free_vgpr 12
		.amdhsa_next_free_sgpr 23
		.amdhsa_named_barrier_count 0
		.amdhsa_reserve_vcc 1
		.amdhsa_float_round_mode_32 0
		.amdhsa_float_round_mode_16_64 0
		.amdhsa_float_denorm_mode_32 3
		.amdhsa_float_denorm_mode_16_64 3
		.amdhsa_fp16_overflow 0
		.amdhsa_memory_ordered 1
		.amdhsa_forward_progress 1
		.amdhsa_inst_pref_size 6
		.amdhsa_round_robin_scheduling 0
		.amdhsa_exception_fp_ieee_invalid_op 0
		.amdhsa_exception_fp_denorm_src 0
		.amdhsa_exception_fp_ieee_div_zero 0
		.amdhsa_exception_fp_ieee_overflow 0
		.amdhsa_exception_fp_ieee_underflow 0
		.amdhsa_exception_fp_ieee_inexact 0
		.amdhsa_exception_int_div_zero 0
	.end_amdhsa_kernel
	.section	.text._ZN9rocsparseL19csxsldu_fill_kernelILj1024EL20rocsparse_diag_type_0ELS1_1EdiiEEvT4_PKT3_PKS2_PKT2_21rocsparse_index_base_S5_PS2_PS8_SB_S5_SC_SD_SB_SD_,"axG",@progbits,_ZN9rocsparseL19csxsldu_fill_kernelILj1024EL20rocsparse_diag_type_0ELS1_1EdiiEEvT4_PKT3_PKS2_PKT2_21rocsparse_index_base_S5_PS2_PS8_SB_S5_SC_SD_SB_SD_,comdat
.Lfunc_end8:
	.size	_ZN9rocsparseL19csxsldu_fill_kernelILj1024EL20rocsparse_diag_type_0ELS1_1EdiiEEvT4_PKT3_PKS2_PKT2_21rocsparse_index_base_S5_PS2_PS8_SB_S5_SC_SD_SB_SD_, .Lfunc_end8-_ZN9rocsparseL19csxsldu_fill_kernelILj1024EL20rocsparse_diag_type_0ELS1_1EdiiEEvT4_PKT3_PKS2_PKT2_21rocsparse_index_base_S5_PS2_PS8_SB_S5_SC_SD_SB_SD_
                                        ; -- End function
	.set _ZN9rocsparseL19csxsldu_fill_kernelILj1024EL20rocsparse_diag_type_0ELS1_1EdiiEEvT4_PKT3_PKS2_PKT2_21rocsparse_index_base_S5_PS2_PS8_SB_S5_SC_SD_SB_SD_.num_vgpr, 12
	.set _ZN9rocsparseL19csxsldu_fill_kernelILj1024EL20rocsparse_diag_type_0ELS1_1EdiiEEvT4_PKT3_PKS2_PKT2_21rocsparse_index_base_S5_PS2_PS8_SB_S5_SC_SD_SB_SD_.num_agpr, 0
	.set _ZN9rocsparseL19csxsldu_fill_kernelILj1024EL20rocsparse_diag_type_0ELS1_1EdiiEEvT4_PKT3_PKS2_PKT2_21rocsparse_index_base_S5_PS2_PS8_SB_S5_SC_SD_SB_SD_.numbered_sgpr, 23
	.set _ZN9rocsparseL19csxsldu_fill_kernelILj1024EL20rocsparse_diag_type_0ELS1_1EdiiEEvT4_PKT3_PKS2_PKT2_21rocsparse_index_base_S5_PS2_PS8_SB_S5_SC_SD_SB_SD_.num_named_barrier, 0
	.set _ZN9rocsparseL19csxsldu_fill_kernelILj1024EL20rocsparse_diag_type_0ELS1_1EdiiEEvT4_PKT3_PKS2_PKT2_21rocsparse_index_base_S5_PS2_PS8_SB_S5_SC_SD_SB_SD_.private_seg_size, 0
	.set _ZN9rocsparseL19csxsldu_fill_kernelILj1024EL20rocsparse_diag_type_0ELS1_1EdiiEEvT4_PKT3_PKS2_PKT2_21rocsparse_index_base_S5_PS2_PS8_SB_S5_SC_SD_SB_SD_.uses_vcc, 1
	.set _ZN9rocsparseL19csxsldu_fill_kernelILj1024EL20rocsparse_diag_type_0ELS1_1EdiiEEvT4_PKT3_PKS2_PKT2_21rocsparse_index_base_S5_PS2_PS8_SB_S5_SC_SD_SB_SD_.uses_flat_scratch, 0
	.set _ZN9rocsparseL19csxsldu_fill_kernelILj1024EL20rocsparse_diag_type_0ELS1_1EdiiEEvT4_PKT3_PKS2_PKT2_21rocsparse_index_base_S5_PS2_PS8_SB_S5_SC_SD_SB_SD_.has_dyn_sized_stack, 0
	.set _ZN9rocsparseL19csxsldu_fill_kernelILj1024EL20rocsparse_diag_type_0ELS1_1EdiiEEvT4_PKT3_PKS2_PKT2_21rocsparse_index_base_S5_PS2_PS8_SB_S5_SC_SD_SB_SD_.has_recursion, 0
	.set _ZN9rocsparseL19csxsldu_fill_kernelILj1024EL20rocsparse_diag_type_0ELS1_1EdiiEEvT4_PKT3_PKS2_PKT2_21rocsparse_index_base_S5_PS2_PS8_SB_S5_SC_SD_SB_SD_.has_indirect_call, 0
	.section	.AMDGPU.csdata,"",@progbits
; Kernel info:
; codeLenInByte = 664
; TotalNumSgprs: 25
; NumVgprs: 12
; ScratchSize: 0
; MemoryBound: 0
; FloatMode: 240
; IeeeMode: 1
; LDSByteSize: 0 bytes/workgroup (compile time only)
; SGPRBlocks: 0
; VGPRBlocks: 0
; NumSGPRsForWavesPerEU: 25
; NumVGPRsForWavesPerEU: 12
; NamedBarCnt: 0
; Occupancy: 16
; WaveLimiterHint : 0
; COMPUTE_PGM_RSRC2:SCRATCH_EN: 0
; COMPUTE_PGM_RSRC2:USER_SGPR: 2
; COMPUTE_PGM_RSRC2:TRAP_HANDLER: 0
; COMPUTE_PGM_RSRC2:TGID_X_EN: 1
; COMPUTE_PGM_RSRC2:TGID_Y_EN: 0
; COMPUTE_PGM_RSRC2:TGID_Z_EN: 0
; COMPUTE_PGM_RSRC2:TIDIG_COMP_CNT: 0
	.section	.text._ZN9rocsparseL19csxsldu_fill_kernelILj1024EL20rocsparse_diag_type_1ELS1_0E21rocsparse_complex_numIfEiiEEvT4_PKT3_PKS4_PKT2_21rocsparse_index_base_S7_PS4_PSA_SD_S7_SE_SF_SD_SF_,"axG",@progbits,_ZN9rocsparseL19csxsldu_fill_kernelILj1024EL20rocsparse_diag_type_1ELS1_0E21rocsparse_complex_numIfEiiEEvT4_PKT3_PKS4_PKT2_21rocsparse_index_base_S7_PS4_PSA_SD_S7_SE_SF_SD_SF_,comdat
	.globl	_ZN9rocsparseL19csxsldu_fill_kernelILj1024EL20rocsparse_diag_type_1ELS1_0E21rocsparse_complex_numIfEiiEEvT4_PKT3_PKS4_PKT2_21rocsparse_index_base_S7_PS4_PSA_SD_S7_SE_SF_SD_SF_ ; -- Begin function _ZN9rocsparseL19csxsldu_fill_kernelILj1024EL20rocsparse_diag_type_1ELS1_0E21rocsparse_complex_numIfEiiEEvT4_PKT3_PKS4_PKT2_21rocsparse_index_base_S7_PS4_PSA_SD_S7_SE_SF_SD_SF_
	.p2align	8
	.type	_ZN9rocsparseL19csxsldu_fill_kernelILj1024EL20rocsparse_diag_type_1ELS1_0E21rocsparse_complex_numIfEiiEEvT4_PKT3_PKS4_PKT2_21rocsparse_index_base_S7_PS4_PSA_SD_S7_SE_SF_SD_SF_,@function
_ZN9rocsparseL19csxsldu_fill_kernelILj1024EL20rocsparse_diag_type_1ELS1_0E21rocsparse_complex_numIfEiiEEvT4_PKT3_PKS4_PKT2_21rocsparse_index_base_S7_PS4_PSA_SD_S7_SE_SF_SD_SF_: ; @_ZN9rocsparseL19csxsldu_fill_kernelILj1024EL20rocsparse_diag_type_1ELS1_0E21rocsparse_complex_numIfEiiEEvT4_PKT3_PKS4_PKT2_21rocsparse_index_base_S7_PS4_PSA_SD_S7_SE_SF_SD_SF_
; %bb.0:
	s_clause 0x1
	s_load_b32 s2, s[0:1], 0x7c
	s_load_b32 s3, s[0:1], 0x0
	s_bfe_u32 s4, ttmp6, 0x4000c
	s_and_b32 s5, ttmp6, 15
	s_add_co_i32 s4, s4, 1
	s_getreg_b32 s6, hwreg(HW_REG_IB_STS2, 6, 4)
	s_mul_i32 s4, ttmp9, s4
	s_delay_alu instid0(SALU_CYCLE_1) | instskip(SKIP_4) | instid1(SALU_CYCLE_1)
	s_add_co_i32 s5, s5, s4
	s_wait_kmcnt 0x0
	s_and_b32 s2, s2, 0xffff
	s_cmp_eq_u32 s6, 0
	s_cselect_b32 s4, ttmp9, s5
	v_mad_u32 v2, s4, s2, v0
	s_mov_b32 s2, exec_lo
	s_delay_alu instid0(VALU_DEP_1)
	v_cmpx_gt_i32_e64 s3, v2
	s_cbranch_execz .LBB9_10
; %bb.1:
	s_clause 0x1
	s_load_b128 s[8:11], s[0:1], 0x8
	s_load_b128 s[4:7], s[0:1], 0x48
	v_ashrrev_i32_e32 v3, 31, v2
	s_clause 0x1
	s_load_b96 s[16:18], s[0:1], 0x18
	s_load_b64 s[2:3], s[0:1], 0x58
	s_wait_kmcnt 0x0
	v_lshl_add_u64 v[0:1], v[2:3], 2, s[8:9]
	global_load_b64 v[4:5], v[0:1], off
	global_load_b32 v9, v2, s[4:5] scale_offset
	s_wait_xcnt 0x0
	s_mov_b32 s4, exec_lo
	s_wait_loadcnt 0x1
	v_subrev_nc_u32_e32 v0, s18, v4
	v_subrev_nc_u32_e32 v8, s18, v5
	v_cmpx_lt_i32_e64 v4, v5
	s_cbranch_execz .LBB9_7
; %bb.2:
	s_clause 0x1
	s_load_b128 s[12:15], s[0:1], 0x28
	s_load_b96 s[20:22], s[0:1], 0x38
	v_ashrrev_i32_e32 v1, 31, v0
	s_mov_b32 s5, 0
                                        ; implicit-def: $sgpr8
	s_delay_alu instid0(VALU_DEP_1)
	v_lshl_add_u64 v[6:7], v[0:1], 3, s[16:17]
	s_wait_kmcnt 0x0
	v_lshl_add_u64 v[4:5], v[2:3], 2, s[12:13]
	global_load_b32 v3, v[4:5], off
	s_wait_xcnt 0x0
	v_lshl_add_u64 v[4:5], v[0:1], 2, s[10:11]
	s_wait_loadcnt 0x0
	v_subrev_nc_u32_e32 v1, s22, v3
	s_branch .LBB9_4
.LBB9_3:                                ;   in Loop: Header=BB9_4 Depth=1
	s_or_b32 exec_lo, exec_lo, s9
	s_delay_alu instid0(SALU_CYCLE_1) | instskip(NEXT) | instid1(SALU_CYCLE_1)
	s_and_b32 s9, exec_lo, s8
	s_or_b32 s5, s9, s5
	s_delay_alu instid0(SALU_CYCLE_1)
	s_and_not1_b32 exec_lo, exec_lo, s5
	s_cbranch_execz .LBB9_6
.LBB9_4:                                ; =>This Inner Loop Header: Depth=1
	global_load_b32 v3, v[4:5], off
	s_or_b32 s8, s8, exec_lo
	s_mov_b32 s9, exec_lo
	s_wait_loadcnt 0x0
	v_subrev_nc_u32_e32 v3, s18, v3
	s_wait_xcnt 0x0
	s_delay_alu instid0(VALU_DEP_1)
	v_cmpx_gt_i32_e64 v2, v3
	s_cbranch_execz .LBB9_3
; %bb.5:                                ;   in Loop: Header=BB9_4 Depth=1
	v_dual_add_nc_u32 v3, s22, v3 :: v_dual_add_nc_u32 v0, 1, v0
	v_add_nc_u64_e32 v[4:5], 4, v[4:5]
	s_and_not1_b32 s8, s8, exec_lo
	global_store_b32 v1, v3, s[14:15] scale_offset
	global_load_b64 v[10:11], v[6:7], off
	v_cmp_ge_i32_e32 vcc_lo, v0, v8
	s_wait_xcnt 0x0
	v_add_nc_u64_e32 v[6:7], 8, v[6:7]
	s_and_b32 s12, vcc_lo, exec_lo
	s_delay_alu instid0(SALU_CYCLE_1)
	s_or_b32 s8, s8, s12
	s_wait_loadcnt 0x0
	global_store_b64 v1, v[10:11], s[20:21] scale_offset
	s_wait_xcnt 0x0
	v_add_nc_u32_e32 v1, 1, v1
	s_branch .LBB9_3
.LBB9_6:
	s_or_b32 exec_lo, exec_lo, s5
.LBB9_7:
	s_delay_alu instid0(SALU_CYCLE_1) | instskip(NEXT) | instid1(VALU_DEP_2)
	s_or_b32 exec_lo, exec_lo, s4
	v_cmp_lt_i32_e32 vcc_lo, v0, v8
	s_and_b32 exec_lo, exec_lo, vcc_lo
	s_cbranch_execz .LBB9_10
; %bb.8:
	s_load_b32 s0, s[0:1], 0x60
	v_ashrrev_i32_e32 v1, 31, v0
	s_wait_xcnt 0x0
	s_mov_b32 s1, 0
	s_delay_alu instid0(VALU_DEP_1)
	v_lshl_add_u64 v[2:3], v[0:1], 2, s[10:11]
	v_lshl_add_u64 v[4:5], v[0:1], 3, s[16:17]
	s_wait_loadcnt 0x0
	s_wait_kmcnt 0x0
	v_subrev_nc_u32_e32 v1, s0, v9
	s_sub_co_i32 s0, s0, s18
.LBB9_9:                                ; =>This Inner Loop Header: Depth=1
	global_load_b32 v6, v[2:3], off
	s_wait_xcnt 0x0
	v_add_nc_u64_e32 v[2:3], 4, v[2:3]
	v_add_nc_u32_e32 v0, 1, v0
	s_delay_alu instid0(VALU_DEP_1)
	v_cmp_ge_i32_e32 vcc_lo, v0, v8
	s_or_b32 s1, vcc_lo, s1
	s_wait_loadcnt 0x0
	v_add_nc_u32_e32 v6, s0, v6
	global_store_b32 v1, v6, s[6:7] scale_offset
	global_load_b64 v[6:7], v[4:5], off
	s_wait_xcnt 0x0
	v_add_nc_u64_e32 v[4:5], 8, v[4:5]
	s_wait_loadcnt 0x0
	global_store_b64 v1, v[6:7], s[2:3] scale_offset
	s_wait_xcnt 0x0
	v_add_nc_u32_e32 v1, 1, v1
	s_and_not1_b32 exec_lo, exec_lo, s1
	s_cbranch_execnz .LBB9_9
.LBB9_10:
	s_endpgm
	.section	.rodata,"a",@progbits
	.p2align	6, 0x0
	.amdhsa_kernel _ZN9rocsparseL19csxsldu_fill_kernelILj1024EL20rocsparse_diag_type_1ELS1_0E21rocsparse_complex_numIfEiiEEvT4_PKT3_PKS4_PKT2_21rocsparse_index_base_S7_PS4_PSA_SD_S7_SE_SF_SD_SF_
		.amdhsa_group_segment_fixed_size 0
		.amdhsa_private_segment_fixed_size 0
		.amdhsa_kernarg_size 368
		.amdhsa_user_sgpr_count 2
		.amdhsa_user_sgpr_dispatch_ptr 0
		.amdhsa_user_sgpr_queue_ptr 0
		.amdhsa_user_sgpr_kernarg_segment_ptr 1
		.amdhsa_user_sgpr_dispatch_id 0
		.amdhsa_user_sgpr_kernarg_preload_length 0
		.amdhsa_user_sgpr_kernarg_preload_offset 0
		.amdhsa_user_sgpr_private_segment_size 0
		.amdhsa_wavefront_size32 1
		.amdhsa_uses_dynamic_stack 0
		.amdhsa_enable_private_segment 0
		.amdhsa_system_sgpr_workgroup_id_x 1
		.amdhsa_system_sgpr_workgroup_id_y 0
		.amdhsa_system_sgpr_workgroup_id_z 0
		.amdhsa_system_sgpr_workgroup_info 0
		.amdhsa_system_vgpr_workitem_id 0
		.amdhsa_next_free_vgpr 12
		.amdhsa_next_free_sgpr 23
		.amdhsa_named_barrier_count 0
		.amdhsa_reserve_vcc 1
		.amdhsa_float_round_mode_32 0
		.amdhsa_float_round_mode_16_64 0
		.amdhsa_float_denorm_mode_32 3
		.amdhsa_float_denorm_mode_16_64 3
		.amdhsa_fp16_overflow 0
		.amdhsa_memory_ordered 1
		.amdhsa_forward_progress 1
		.amdhsa_inst_pref_size 6
		.amdhsa_round_robin_scheduling 0
		.amdhsa_exception_fp_ieee_invalid_op 0
		.amdhsa_exception_fp_denorm_src 0
		.amdhsa_exception_fp_ieee_div_zero 0
		.amdhsa_exception_fp_ieee_overflow 0
		.amdhsa_exception_fp_ieee_underflow 0
		.amdhsa_exception_fp_ieee_inexact 0
		.amdhsa_exception_int_div_zero 0
	.end_amdhsa_kernel
	.section	.text._ZN9rocsparseL19csxsldu_fill_kernelILj1024EL20rocsparse_diag_type_1ELS1_0E21rocsparse_complex_numIfEiiEEvT4_PKT3_PKS4_PKT2_21rocsparse_index_base_S7_PS4_PSA_SD_S7_SE_SF_SD_SF_,"axG",@progbits,_ZN9rocsparseL19csxsldu_fill_kernelILj1024EL20rocsparse_diag_type_1ELS1_0E21rocsparse_complex_numIfEiiEEvT4_PKT3_PKS4_PKT2_21rocsparse_index_base_S7_PS4_PSA_SD_S7_SE_SF_SD_SF_,comdat
.Lfunc_end9:
	.size	_ZN9rocsparseL19csxsldu_fill_kernelILj1024EL20rocsparse_diag_type_1ELS1_0E21rocsparse_complex_numIfEiiEEvT4_PKT3_PKS4_PKT2_21rocsparse_index_base_S7_PS4_PSA_SD_S7_SE_SF_SD_SF_, .Lfunc_end9-_ZN9rocsparseL19csxsldu_fill_kernelILj1024EL20rocsparse_diag_type_1ELS1_0E21rocsparse_complex_numIfEiiEEvT4_PKT3_PKS4_PKT2_21rocsparse_index_base_S7_PS4_PSA_SD_S7_SE_SF_SD_SF_
                                        ; -- End function
	.set _ZN9rocsparseL19csxsldu_fill_kernelILj1024EL20rocsparse_diag_type_1ELS1_0E21rocsparse_complex_numIfEiiEEvT4_PKT3_PKS4_PKT2_21rocsparse_index_base_S7_PS4_PSA_SD_S7_SE_SF_SD_SF_.num_vgpr, 12
	.set _ZN9rocsparseL19csxsldu_fill_kernelILj1024EL20rocsparse_diag_type_1ELS1_0E21rocsparse_complex_numIfEiiEEvT4_PKT3_PKS4_PKT2_21rocsparse_index_base_S7_PS4_PSA_SD_S7_SE_SF_SD_SF_.num_agpr, 0
	.set _ZN9rocsparseL19csxsldu_fill_kernelILj1024EL20rocsparse_diag_type_1ELS1_0E21rocsparse_complex_numIfEiiEEvT4_PKT3_PKS4_PKT2_21rocsparse_index_base_S7_PS4_PSA_SD_S7_SE_SF_SD_SF_.numbered_sgpr, 23
	.set _ZN9rocsparseL19csxsldu_fill_kernelILj1024EL20rocsparse_diag_type_1ELS1_0E21rocsparse_complex_numIfEiiEEvT4_PKT3_PKS4_PKT2_21rocsparse_index_base_S7_PS4_PSA_SD_S7_SE_SF_SD_SF_.num_named_barrier, 0
	.set _ZN9rocsparseL19csxsldu_fill_kernelILj1024EL20rocsparse_diag_type_1ELS1_0E21rocsparse_complex_numIfEiiEEvT4_PKT3_PKS4_PKT2_21rocsparse_index_base_S7_PS4_PSA_SD_S7_SE_SF_SD_SF_.private_seg_size, 0
	.set _ZN9rocsparseL19csxsldu_fill_kernelILj1024EL20rocsparse_diag_type_1ELS1_0E21rocsparse_complex_numIfEiiEEvT4_PKT3_PKS4_PKT2_21rocsparse_index_base_S7_PS4_PSA_SD_S7_SE_SF_SD_SF_.uses_vcc, 1
	.set _ZN9rocsparseL19csxsldu_fill_kernelILj1024EL20rocsparse_diag_type_1ELS1_0E21rocsparse_complex_numIfEiiEEvT4_PKT3_PKS4_PKT2_21rocsparse_index_base_S7_PS4_PSA_SD_S7_SE_SF_SD_SF_.uses_flat_scratch, 0
	.set _ZN9rocsparseL19csxsldu_fill_kernelILj1024EL20rocsparse_diag_type_1ELS1_0E21rocsparse_complex_numIfEiiEEvT4_PKT3_PKS4_PKT2_21rocsparse_index_base_S7_PS4_PSA_SD_S7_SE_SF_SD_SF_.has_dyn_sized_stack, 0
	.set _ZN9rocsparseL19csxsldu_fill_kernelILj1024EL20rocsparse_diag_type_1ELS1_0E21rocsparse_complex_numIfEiiEEvT4_PKT3_PKS4_PKT2_21rocsparse_index_base_S7_PS4_PSA_SD_S7_SE_SF_SD_SF_.has_recursion, 0
	.set _ZN9rocsparseL19csxsldu_fill_kernelILj1024EL20rocsparse_diag_type_1ELS1_0E21rocsparse_complex_numIfEiiEEvT4_PKT3_PKS4_PKT2_21rocsparse_index_base_S7_PS4_PSA_SD_S7_SE_SF_SD_SF_.has_indirect_call, 0
	.section	.AMDGPU.csdata,"",@progbits
; Kernel info:
; codeLenInByte = 664
; TotalNumSgprs: 25
; NumVgprs: 12
; ScratchSize: 0
; MemoryBound: 0
; FloatMode: 240
; IeeeMode: 1
; LDSByteSize: 0 bytes/workgroup (compile time only)
; SGPRBlocks: 0
; VGPRBlocks: 0
; NumSGPRsForWavesPerEU: 25
; NumVGPRsForWavesPerEU: 12
; NamedBarCnt: 0
; Occupancy: 16
; WaveLimiterHint : 0
; COMPUTE_PGM_RSRC2:SCRATCH_EN: 0
; COMPUTE_PGM_RSRC2:USER_SGPR: 2
; COMPUTE_PGM_RSRC2:TRAP_HANDLER: 0
; COMPUTE_PGM_RSRC2:TGID_X_EN: 1
; COMPUTE_PGM_RSRC2:TGID_Y_EN: 0
; COMPUTE_PGM_RSRC2:TGID_Z_EN: 0
; COMPUTE_PGM_RSRC2:TIDIG_COMP_CNT: 0
	.section	.text._ZN9rocsparseL19csxsldu_fill_kernelILj1024EL20rocsparse_diag_type_1ELS1_1E21rocsparse_complex_numIfEiiEEvT4_PKT3_PKS4_PKT2_21rocsparse_index_base_S7_PS4_PSA_SD_S7_SE_SF_SD_SF_,"axG",@progbits,_ZN9rocsparseL19csxsldu_fill_kernelILj1024EL20rocsparse_diag_type_1ELS1_1E21rocsparse_complex_numIfEiiEEvT4_PKT3_PKS4_PKT2_21rocsparse_index_base_S7_PS4_PSA_SD_S7_SE_SF_SD_SF_,comdat
	.globl	_ZN9rocsparseL19csxsldu_fill_kernelILj1024EL20rocsparse_diag_type_1ELS1_1E21rocsparse_complex_numIfEiiEEvT4_PKT3_PKS4_PKT2_21rocsparse_index_base_S7_PS4_PSA_SD_S7_SE_SF_SD_SF_ ; -- Begin function _ZN9rocsparseL19csxsldu_fill_kernelILj1024EL20rocsparse_diag_type_1ELS1_1E21rocsparse_complex_numIfEiiEEvT4_PKT3_PKS4_PKT2_21rocsparse_index_base_S7_PS4_PSA_SD_S7_SE_SF_SD_SF_
	.p2align	8
	.type	_ZN9rocsparseL19csxsldu_fill_kernelILj1024EL20rocsparse_diag_type_1ELS1_1E21rocsparse_complex_numIfEiiEEvT4_PKT3_PKS4_PKT2_21rocsparse_index_base_S7_PS4_PSA_SD_S7_SE_SF_SD_SF_,@function
_ZN9rocsparseL19csxsldu_fill_kernelILj1024EL20rocsparse_diag_type_1ELS1_1E21rocsparse_complex_numIfEiiEEvT4_PKT3_PKS4_PKT2_21rocsparse_index_base_S7_PS4_PSA_SD_S7_SE_SF_SD_SF_: ; @_ZN9rocsparseL19csxsldu_fill_kernelILj1024EL20rocsparse_diag_type_1ELS1_1E21rocsparse_complex_numIfEiiEEvT4_PKT3_PKS4_PKT2_21rocsparse_index_base_S7_PS4_PSA_SD_S7_SE_SF_SD_SF_
; %bb.0:
	s_clause 0x1
	s_load_b32 s2, s[0:1], 0x7c
	s_load_b32 s3, s[0:1], 0x0
	s_bfe_u32 s4, ttmp6, 0x4000c
	s_and_b32 s5, ttmp6, 15
	s_add_co_i32 s4, s4, 1
	s_getreg_b32 s6, hwreg(HW_REG_IB_STS2, 6, 4)
	s_mul_i32 s4, ttmp9, s4
	s_delay_alu instid0(SALU_CYCLE_1) | instskip(SKIP_4) | instid1(SALU_CYCLE_1)
	s_add_co_i32 s5, s5, s4
	s_wait_kmcnt 0x0
	s_and_b32 s2, s2, 0xffff
	s_cmp_eq_u32 s6, 0
	s_cselect_b32 s4, ttmp9, s5
	v_mad_u32 v2, s4, s2, v0
	s_mov_b32 s2, exec_lo
	s_delay_alu instid0(VALU_DEP_1)
	v_cmpx_gt_i32_e64 s3, v2
	s_cbranch_execz .LBB10_14
; %bb.1:
	s_clause 0x1
	s_load_b128 s[8:11], s[0:1], 0x8
	s_load_b128 s[4:7], s[0:1], 0x48
	v_ashrrev_i32_e32 v3, 31, v2
	s_clause 0x1
	s_load_b96 s[16:18], s[0:1], 0x18
	s_load_b64 s[2:3], s[0:1], 0x58
	s_wait_kmcnt 0x0
	v_lshl_add_u64 v[0:1], v[2:3], 2, s[8:9]
	global_load_b64 v[4:5], v[0:1], off
	global_load_b32 v11, v2, s[4:5] scale_offset
	s_wait_xcnt 0x0
	s_mov_b32 s4, exec_lo
	s_wait_loadcnt 0x1
	v_subrev_nc_u32_e32 v0, s18, v4
	v_subrev_nc_u32_e32 v10, s18, v5
	v_cmpx_lt_i32_e64 v4, v5
	s_cbranch_execz .LBB10_11
; %bb.2:
	s_clause 0x1
	s_load_b128 s[12:15], s[0:1], 0x28
	s_load_b96 s[20:22], s[0:1], 0x38
	v_ashrrev_i32_e32 v1, 31, v0
	s_mov_b32 s8, 0
                                        ; implicit-def: $sgpr5
                                        ; implicit-def: $sgpr9
	s_delay_alu instid0(VALU_DEP_1)
	v_lshl_add_u64 v[6:7], v[0:1], 2, s[10:11]
	v_lshl_add_u64 v[8:9], v[0:1], 3, s[16:17]
	s_wait_kmcnt 0x0
	v_lshl_add_u64 v[4:5], v[2:3], 2, s[12:13]
                                        ; implicit-def: $sgpr12
	global_load_b32 v4, v[4:5], off
	s_wait_loadcnt 0x0
	v_subrev_nc_u32_e32 v12, s22, v4
	s_branch .LBB10_4
.LBB10_3:                               ;   in Loop: Header=BB10_4 Depth=1
	s_or_b32 exec_lo, exec_lo, s13
	s_delay_alu instid0(SALU_CYCLE_1) | instskip(NEXT) | instid1(SALU_CYCLE_1)
	s_and_b32 s13, exec_lo, s12
	s_or_b32 s8, s13, s8
	s_and_not1_b32 s5, s5, exec_lo
	s_and_b32 s13, s9, exec_lo
	s_delay_alu instid0(SALU_CYCLE_1)
	s_or_b32 s5, s5, s13
	s_and_not1_b32 exec_lo, exec_lo, s8
	s_cbranch_execz .LBB10_6
.LBB10_4:                               ; =>This Inner Loop Header: Depth=1
	global_load_b32 v4, v[6:7], off
	s_or_b32 s9, s9, exec_lo
	s_or_b32 s12, s12, exec_lo
	s_mov_b32 s13, exec_lo
	s_wait_loadcnt 0x0
	v_subrev_nc_u32_e32 v13, s18, v4
	v_mov_b64_e32 v[4:5], v[0:1]
                                        ; implicit-def: $vgpr0_vgpr1
	s_wait_xcnt 0x0
	s_delay_alu instid0(VALU_DEP_2)
	v_cmpx_gt_i32_e64 v2, v13
	s_cbranch_execz .LBB10_3
; %bb.5:                                ;   in Loop: Header=BB10_4 Depth=1
	v_add_nc_u32_e32 v0, s22, v13
	v_add_nc_u64_e32 v[6:7], 4, v[6:7]
	s_and_not1_b32 s12, s12, exec_lo
	s_and_not1_b32 s9, s9, exec_lo
	global_store_b32 v12, v0, s[14:15] scale_offset
	global_load_b64 v[14:15], v[8:9], off
	s_wait_xcnt 0x1
	v_add_nc_u64_e32 v[0:1], 1, v[4:5]
	s_wait_xcnt 0x0
	v_add_nc_u64_e32 v[8:9], 8, v[8:9]
	s_delay_alu instid0(VALU_DEP_2) | instskip(SKIP_1) | instid1(SALU_CYCLE_1)
	v_cmp_ge_i32_e32 vcc_lo, v0, v10
	s_and_b32 s19, vcc_lo, exec_lo
	s_or_b32 s12, s12, s19
	s_wait_loadcnt 0x0
	global_store_b64 v12, v[14:15], s[20:21] scale_offset
	s_wait_xcnt 0x0
	v_add_nc_u32_e32 v12, 1, v12
	s_branch .LBB10_3
.LBB10_6:
	s_or_b32 exec_lo, exec_lo, s8
	s_and_saveexec_b32 s8, s5
	s_delay_alu instid0(SALU_CYCLE_1)
	s_xor_b32 s5, exec_lo, s8
	s_cbranch_execz .LBB10_10
; %bb.7:
	s_mov_b32 s8, exec_lo
	v_cmpx_eq_u32_e64 v13, v2
	s_cbranch_execz .LBB10_9
; %bb.8:
	v_lshl_add_u64 v[0:1], v[4:5], 3, s[16:17]
	s_load_b64 s[12:13], s[0:1], 0x68
	v_add_nc_u32_e32 v4, 1, v4
	global_load_b64 v[0:1], v[0:1], off
	s_wait_kmcnt 0x0
	v_lshl_add_u64 v[2:3], v[2:3], 3, s[12:13]
	s_wait_loadcnt 0x0
	global_store_b64 v[2:3], v[0:1], off
.LBB10_9:
	s_wait_xcnt 0x0
	s_or_b32 exec_lo, exec_lo, s8
	v_mov_b32_e32 v0, v4
.LBB10_10:
	s_or_b32 exec_lo, exec_lo, s5
.LBB10_11:
	s_delay_alu instid0(SALU_CYCLE_1) | instskip(NEXT) | instid1(VALU_DEP_1)
	s_or_b32 exec_lo, exec_lo, s4
	v_cmp_lt_i32_e32 vcc_lo, v0, v10
	s_and_b32 exec_lo, exec_lo, vcc_lo
	s_cbranch_execz .LBB10_14
; %bb.12:
	s_load_b32 s0, s[0:1], 0x60
	v_ashrrev_i32_e32 v1, 31, v0
	s_wait_xcnt 0x0
	s_mov_b32 s1, 0
	s_delay_alu instid0(VALU_DEP_1)
	v_lshl_add_u64 v[2:3], v[0:1], 2, s[10:11]
	v_lshl_add_u64 v[4:5], v[0:1], 3, s[16:17]
	s_wait_loadcnt 0x0
	s_wait_kmcnt 0x0
	v_subrev_nc_u32_e32 v1, s0, v11
	s_sub_co_i32 s0, s0, s18
.LBB10_13:                              ; =>This Inner Loop Header: Depth=1
	global_load_b32 v6, v[2:3], off
	s_wait_xcnt 0x0
	v_add_nc_u64_e32 v[2:3], 4, v[2:3]
	v_add_nc_u32_e32 v0, 1, v0
	s_delay_alu instid0(VALU_DEP_1)
	v_cmp_ge_i32_e32 vcc_lo, v0, v10
	s_or_b32 s1, vcc_lo, s1
	s_wait_loadcnt 0x0
	v_add_nc_u32_e32 v6, s0, v6
	global_store_b32 v1, v6, s[6:7] scale_offset
	global_load_b64 v[6:7], v[4:5], off
	s_wait_xcnt 0x0
	v_add_nc_u64_e32 v[4:5], 8, v[4:5]
	s_wait_loadcnt 0x0
	global_store_b64 v1, v[6:7], s[2:3] scale_offset
	s_wait_xcnt 0x0
	v_add_nc_u32_e32 v1, 1, v1
	s_and_not1_b32 exec_lo, exec_lo, s1
	s_cbranch_execnz .LBB10_13
.LBB10_14:
	s_endpgm
	.section	.rodata,"a",@progbits
	.p2align	6, 0x0
	.amdhsa_kernel _ZN9rocsparseL19csxsldu_fill_kernelILj1024EL20rocsparse_diag_type_1ELS1_1E21rocsparse_complex_numIfEiiEEvT4_PKT3_PKS4_PKT2_21rocsparse_index_base_S7_PS4_PSA_SD_S7_SE_SF_SD_SF_
		.amdhsa_group_segment_fixed_size 0
		.amdhsa_private_segment_fixed_size 0
		.amdhsa_kernarg_size 368
		.amdhsa_user_sgpr_count 2
		.amdhsa_user_sgpr_dispatch_ptr 0
		.amdhsa_user_sgpr_queue_ptr 0
		.amdhsa_user_sgpr_kernarg_segment_ptr 1
		.amdhsa_user_sgpr_dispatch_id 0
		.amdhsa_user_sgpr_kernarg_preload_length 0
		.amdhsa_user_sgpr_kernarg_preload_offset 0
		.amdhsa_user_sgpr_private_segment_size 0
		.amdhsa_wavefront_size32 1
		.amdhsa_uses_dynamic_stack 0
		.amdhsa_enable_private_segment 0
		.amdhsa_system_sgpr_workgroup_id_x 1
		.amdhsa_system_sgpr_workgroup_id_y 0
		.amdhsa_system_sgpr_workgroup_id_z 0
		.amdhsa_system_sgpr_workgroup_info 0
		.amdhsa_system_vgpr_workitem_id 0
		.amdhsa_next_free_vgpr 16
		.amdhsa_next_free_sgpr 23
		.amdhsa_named_barrier_count 0
		.amdhsa_reserve_vcc 1
		.amdhsa_float_round_mode_32 0
		.amdhsa_float_round_mode_16_64 0
		.amdhsa_float_denorm_mode_32 3
		.amdhsa_float_denorm_mode_16_64 3
		.amdhsa_fp16_overflow 0
		.amdhsa_memory_ordered 1
		.amdhsa_forward_progress 1
		.amdhsa_inst_pref_size 7
		.amdhsa_round_robin_scheduling 0
		.amdhsa_exception_fp_ieee_invalid_op 0
		.amdhsa_exception_fp_denorm_src 0
		.amdhsa_exception_fp_ieee_div_zero 0
		.amdhsa_exception_fp_ieee_overflow 0
		.amdhsa_exception_fp_ieee_underflow 0
		.amdhsa_exception_fp_ieee_inexact 0
		.amdhsa_exception_int_div_zero 0
	.end_amdhsa_kernel
	.section	.text._ZN9rocsparseL19csxsldu_fill_kernelILj1024EL20rocsparse_diag_type_1ELS1_1E21rocsparse_complex_numIfEiiEEvT4_PKT3_PKS4_PKT2_21rocsparse_index_base_S7_PS4_PSA_SD_S7_SE_SF_SD_SF_,"axG",@progbits,_ZN9rocsparseL19csxsldu_fill_kernelILj1024EL20rocsparse_diag_type_1ELS1_1E21rocsparse_complex_numIfEiiEEvT4_PKT3_PKS4_PKT2_21rocsparse_index_base_S7_PS4_PSA_SD_S7_SE_SF_SD_SF_,comdat
.Lfunc_end10:
	.size	_ZN9rocsparseL19csxsldu_fill_kernelILj1024EL20rocsparse_diag_type_1ELS1_1E21rocsparse_complex_numIfEiiEEvT4_PKT3_PKS4_PKT2_21rocsparse_index_base_S7_PS4_PSA_SD_S7_SE_SF_SD_SF_, .Lfunc_end10-_ZN9rocsparseL19csxsldu_fill_kernelILj1024EL20rocsparse_diag_type_1ELS1_1E21rocsparse_complex_numIfEiiEEvT4_PKT3_PKS4_PKT2_21rocsparse_index_base_S7_PS4_PSA_SD_S7_SE_SF_SD_SF_
                                        ; -- End function
	.set _ZN9rocsparseL19csxsldu_fill_kernelILj1024EL20rocsparse_diag_type_1ELS1_1E21rocsparse_complex_numIfEiiEEvT4_PKT3_PKS4_PKT2_21rocsparse_index_base_S7_PS4_PSA_SD_S7_SE_SF_SD_SF_.num_vgpr, 16
	.set _ZN9rocsparseL19csxsldu_fill_kernelILj1024EL20rocsparse_diag_type_1ELS1_1E21rocsparse_complex_numIfEiiEEvT4_PKT3_PKS4_PKT2_21rocsparse_index_base_S7_PS4_PSA_SD_S7_SE_SF_SD_SF_.num_agpr, 0
	.set _ZN9rocsparseL19csxsldu_fill_kernelILj1024EL20rocsparse_diag_type_1ELS1_1E21rocsparse_complex_numIfEiiEEvT4_PKT3_PKS4_PKT2_21rocsparse_index_base_S7_PS4_PSA_SD_S7_SE_SF_SD_SF_.numbered_sgpr, 23
	.set _ZN9rocsparseL19csxsldu_fill_kernelILj1024EL20rocsparse_diag_type_1ELS1_1E21rocsparse_complex_numIfEiiEEvT4_PKT3_PKS4_PKT2_21rocsparse_index_base_S7_PS4_PSA_SD_S7_SE_SF_SD_SF_.num_named_barrier, 0
	.set _ZN9rocsparseL19csxsldu_fill_kernelILj1024EL20rocsparse_diag_type_1ELS1_1E21rocsparse_complex_numIfEiiEEvT4_PKT3_PKS4_PKT2_21rocsparse_index_base_S7_PS4_PSA_SD_S7_SE_SF_SD_SF_.private_seg_size, 0
	.set _ZN9rocsparseL19csxsldu_fill_kernelILj1024EL20rocsparse_diag_type_1ELS1_1E21rocsparse_complex_numIfEiiEEvT4_PKT3_PKS4_PKT2_21rocsparse_index_base_S7_PS4_PSA_SD_S7_SE_SF_SD_SF_.uses_vcc, 1
	.set _ZN9rocsparseL19csxsldu_fill_kernelILj1024EL20rocsparse_diag_type_1ELS1_1E21rocsparse_complex_numIfEiiEEvT4_PKT3_PKS4_PKT2_21rocsparse_index_base_S7_PS4_PSA_SD_S7_SE_SF_SD_SF_.uses_flat_scratch, 0
	.set _ZN9rocsparseL19csxsldu_fill_kernelILj1024EL20rocsparse_diag_type_1ELS1_1E21rocsparse_complex_numIfEiiEEvT4_PKT3_PKS4_PKT2_21rocsparse_index_base_S7_PS4_PSA_SD_S7_SE_SF_SD_SF_.has_dyn_sized_stack, 0
	.set _ZN9rocsparseL19csxsldu_fill_kernelILj1024EL20rocsparse_diag_type_1ELS1_1E21rocsparse_complex_numIfEiiEEvT4_PKT3_PKS4_PKT2_21rocsparse_index_base_S7_PS4_PSA_SD_S7_SE_SF_SD_SF_.has_recursion, 0
	.set _ZN9rocsparseL19csxsldu_fill_kernelILj1024EL20rocsparse_diag_type_1ELS1_1E21rocsparse_complex_numIfEiiEEvT4_PKT3_PKS4_PKT2_21rocsparse_index_base_S7_PS4_PSA_SD_S7_SE_SF_SD_SF_.has_indirect_call, 0
	.section	.AMDGPU.csdata,"",@progbits
; Kernel info:
; codeLenInByte = 792
; TotalNumSgprs: 25
; NumVgprs: 16
; ScratchSize: 0
; MemoryBound: 0
; FloatMode: 240
; IeeeMode: 1
; LDSByteSize: 0 bytes/workgroup (compile time only)
; SGPRBlocks: 0
; VGPRBlocks: 0
; NumSGPRsForWavesPerEU: 25
; NumVGPRsForWavesPerEU: 16
; NamedBarCnt: 0
; Occupancy: 16
; WaveLimiterHint : 0
; COMPUTE_PGM_RSRC2:SCRATCH_EN: 0
; COMPUTE_PGM_RSRC2:USER_SGPR: 2
; COMPUTE_PGM_RSRC2:TRAP_HANDLER: 0
; COMPUTE_PGM_RSRC2:TGID_X_EN: 1
; COMPUTE_PGM_RSRC2:TGID_Y_EN: 0
; COMPUTE_PGM_RSRC2:TGID_Z_EN: 0
; COMPUTE_PGM_RSRC2:TIDIG_COMP_CNT: 0
	.section	.text._ZN9rocsparseL19csxsldu_fill_kernelILj1024EL20rocsparse_diag_type_0ELS1_1E21rocsparse_complex_numIfEiiEEvT4_PKT3_PKS4_PKT2_21rocsparse_index_base_S7_PS4_PSA_SD_S7_SE_SF_SD_SF_,"axG",@progbits,_ZN9rocsparseL19csxsldu_fill_kernelILj1024EL20rocsparse_diag_type_0ELS1_1E21rocsparse_complex_numIfEiiEEvT4_PKT3_PKS4_PKT2_21rocsparse_index_base_S7_PS4_PSA_SD_S7_SE_SF_SD_SF_,comdat
	.globl	_ZN9rocsparseL19csxsldu_fill_kernelILj1024EL20rocsparse_diag_type_0ELS1_1E21rocsparse_complex_numIfEiiEEvT4_PKT3_PKS4_PKT2_21rocsparse_index_base_S7_PS4_PSA_SD_S7_SE_SF_SD_SF_ ; -- Begin function _ZN9rocsparseL19csxsldu_fill_kernelILj1024EL20rocsparse_diag_type_0ELS1_1E21rocsparse_complex_numIfEiiEEvT4_PKT3_PKS4_PKT2_21rocsparse_index_base_S7_PS4_PSA_SD_S7_SE_SF_SD_SF_
	.p2align	8
	.type	_ZN9rocsparseL19csxsldu_fill_kernelILj1024EL20rocsparse_diag_type_0ELS1_1E21rocsparse_complex_numIfEiiEEvT4_PKT3_PKS4_PKT2_21rocsparse_index_base_S7_PS4_PSA_SD_S7_SE_SF_SD_SF_,@function
_ZN9rocsparseL19csxsldu_fill_kernelILj1024EL20rocsparse_diag_type_0ELS1_1E21rocsparse_complex_numIfEiiEEvT4_PKT3_PKS4_PKT2_21rocsparse_index_base_S7_PS4_PSA_SD_S7_SE_SF_SD_SF_: ; @_ZN9rocsparseL19csxsldu_fill_kernelILj1024EL20rocsparse_diag_type_0ELS1_1E21rocsparse_complex_numIfEiiEEvT4_PKT3_PKS4_PKT2_21rocsparse_index_base_S7_PS4_PSA_SD_S7_SE_SF_SD_SF_
; %bb.0:
	s_clause 0x1
	s_load_b32 s2, s[0:1], 0x7c
	s_load_b32 s3, s[0:1], 0x0
	s_bfe_u32 s4, ttmp6, 0x4000c
	s_and_b32 s5, ttmp6, 15
	s_add_co_i32 s4, s4, 1
	s_getreg_b32 s6, hwreg(HW_REG_IB_STS2, 6, 4)
	s_mul_i32 s4, ttmp9, s4
	s_delay_alu instid0(SALU_CYCLE_1) | instskip(SKIP_4) | instid1(SALU_CYCLE_1)
	s_add_co_i32 s5, s5, s4
	s_wait_kmcnt 0x0
	s_and_b32 s2, s2, 0xffff
	s_cmp_eq_u32 s6, 0
	s_cselect_b32 s4, ttmp9, s5
	v_mad_u32 v2, s4, s2, v0
	s_mov_b32 s2, exec_lo
	s_delay_alu instid0(VALU_DEP_1)
	v_cmpx_gt_i32_e64 s3, v2
	s_cbranch_execz .LBB11_10
; %bb.1:
	s_clause 0x1
	s_load_b128 s[8:11], s[0:1], 0x8
	s_load_b128 s[4:7], s[0:1], 0x48
	v_ashrrev_i32_e32 v3, 31, v2
	s_clause 0x1
	s_load_b96 s[16:18], s[0:1], 0x18
	s_load_b64 s[2:3], s[0:1], 0x58
	s_wait_kmcnt 0x0
	v_lshl_add_u64 v[0:1], v[2:3], 2, s[8:9]
	global_load_b64 v[4:5], v[0:1], off
	global_load_b32 v9, v2, s[4:5] scale_offset
	s_wait_xcnt 0x0
	s_mov_b32 s4, exec_lo
	s_wait_loadcnt 0x1
	v_subrev_nc_u32_e32 v0, s18, v4
	v_subrev_nc_u32_e32 v8, s18, v5
	v_cmpx_lt_i32_e64 v4, v5
	s_cbranch_execz .LBB11_7
; %bb.2:
	s_clause 0x1
	s_load_b128 s[12:15], s[0:1], 0x28
	s_load_b96 s[20:22], s[0:1], 0x38
	v_ashrrev_i32_e32 v1, 31, v0
	s_mov_b32 s5, 0
                                        ; implicit-def: $sgpr8
	s_delay_alu instid0(VALU_DEP_1)
	v_lshl_add_u64 v[6:7], v[0:1], 3, s[16:17]
	s_wait_kmcnt 0x0
	v_lshl_add_u64 v[4:5], v[2:3], 2, s[12:13]
	global_load_b32 v3, v[4:5], off
	s_wait_xcnt 0x0
	v_lshl_add_u64 v[4:5], v[0:1], 2, s[10:11]
	s_wait_loadcnt 0x0
	v_subrev_nc_u32_e32 v1, s22, v3
	s_branch .LBB11_4
.LBB11_3:                               ;   in Loop: Header=BB11_4 Depth=1
	s_or_b32 exec_lo, exec_lo, s9
	s_delay_alu instid0(SALU_CYCLE_1) | instskip(NEXT) | instid1(SALU_CYCLE_1)
	s_and_b32 s9, exec_lo, s8
	s_or_b32 s5, s9, s5
	s_delay_alu instid0(SALU_CYCLE_1)
	s_and_not1_b32 exec_lo, exec_lo, s5
	s_cbranch_execz .LBB11_6
.LBB11_4:                               ; =>This Inner Loop Header: Depth=1
	global_load_b32 v3, v[4:5], off
	s_or_b32 s8, s8, exec_lo
	s_mov_b32 s9, exec_lo
	s_wait_loadcnt 0x0
	v_subrev_nc_u32_e32 v3, s18, v3
	s_wait_xcnt 0x0
	s_delay_alu instid0(VALU_DEP_1)
	v_cmpx_ge_i32_e64 v2, v3
	s_cbranch_execz .LBB11_3
; %bb.5:                                ;   in Loop: Header=BB11_4 Depth=1
	v_dual_add_nc_u32 v3, s22, v3 :: v_dual_add_nc_u32 v0, 1, v0
	v_add_nc_u64_e32 v[4:5], 4, v[4:5]
	s_and_not1_b32 s8, s8, exec_lo
	global_store_b32 v1, v3, s[14:15] scale_offset
	global_load_b64 v[10:11], v[6:7], off
	v_cmp_ge_i32_e32 vcc_lo, v0, v8
	s_wait_xcnt 0x0
	v_add_nc_u64_e32 v[6:7], 8, v[6:7]
	s_and_b32 s12, vcc_lo, exec_lo
	s_delay_alu instid0(SALU_CYCLE_1)
	s_or_b32 s8, s8, s12
	s_wait_loadcnt 0x0
	global_store_b64 v1, v[10:11], s[20:21] scale_offset
	s_wait_xcnt 0x0
	v_add_nc_u32_e32 v1, 1, v1
	s_branch .LBB11_3
.LBB11_6:
	s_or_b32 exec_lo, exec_lo, s5
.LBB11_7:
	s_delay_alu instid0(SALU_CYCLE_1) | instskip(NEXT) | instid1(VALU_DEP_2)
	s_or_b32 exec_lo, exec_lo, s4
	v_cmp_lt_i32_e32 vcc_lo, v0, v8
	s_and_b32 exec_lo, exec_lo, vcc_lo
	s_cbranch_execz .LBB11_10
; %bb.8:
	s_load_b32 s0, s[0:1], 0x60
	v_ashrrev_i32_e32 v1, 31, v0
	s_wait_xcnt 0x0
	s_mov_b32 s1, 0
	s_delay_alu instid0(VALU_DEP_1)
	v_lshl_add_u64 v[2:3], v[0:1], 2, s[10:11]
	v_lshl_add_u64 v[4:5], v[0:1], 3, s[16:17]
	s_wait_loadcnt 0x0
	s_wait_kmcnt 0x0
	v_subrev_nc_u32_e32 v1, s0, v9
	s_sub_co_i32 s0, s0, s18
.LBB11_9:                               ; =>This Inner Loop Header: Depth=1
	global_load_b32 v6, v[2:3], off
	s_wait_xcnt 0x0
	v_add_nc_u64_e32 v[2:3], 4, v[2:3]
	v_add_nc_u32_e32 v0, 1, v0
	s_delay_alu instid0(VALU_DEP_1)
	v_cmp_ge_i32_e32 vcc_lo, v0, v8
	s_or_b32 s1, vcc_lo, s1
	s_wait_loadcnt 0x0
	v_add_nc_u32_e32 v6, s0, v6
	global_store_b32 v1, v6, s[6:7] scale_offset
	global_load_b64 v[6:7], v[4:5], off
	s_wait_xcnt 0x0
	v_add_nc_u64_e32 v[4:5], 8, v[4:5]
	s_wait_loadcnt 0x0
	global_store_b64 v1, v[6:7], s[2:3] scale_offset
	s_wait_xcnt 0x0
	v_add_nc_u32_e32 v1, 1, v1
	s_and_not1_b32 exec_lo, exec_lo, s1
	s_cbranch_execnz .LBB11_9
.LBB11_10:
	s_endpgm
	.section	.rodata,"a",@progbits
	.p2align	6, 0x0
	.amdhsa_kernel _ZN9rocsparseL19csxsldu_fill_kernelILj1024EL20rocsparse_diag_type_0ELS1_1E21rocsparse_complex_numIfEiiEEvT4_PKT3_PKS4_PKT2_21rocsparse_index_base_S7_PS4_PSA_SD_S7_SE_SF_SD_SF_
		.amdhsa_group_segment_fixed_size 0
		.amdhsa_private_segment_fixed_size 0
		.amdhsa_kernarg_size 368
		.amdhsa_user_sgpr_count 2
		.amdhsa_user_sgpr_dispatch_ptr 0
		.amdhsa_user_sgpr_queue_ptr 0
		.amdhsa_user_sgpr_kernarg_segment_ptr 1
		.amdhsa_user_sgpr_dispatch_id 0
		.amdhsa_user_sgpr_kernarg_preload_length 0
		.amdhsa_user_sgpr_kernarg_preload_offset 0
		.amdhsa_user_sgpr_private_segment_size 0
		.amdhsa_wavefront_size32 1
		.amdhsa_uses_dynamic_stack 0
		.amdhsa_enable_private_segment 0
		.amdhsa_system_sgpr_workgroup_id_x 1
		.amdhsa_system_sgpr_workgroup_id_y 0
		.amdhsa_system_sgpr_workgroup_id_z 0
		.amdhsa_system_sgpr_workgroup_info 0
		.amdhsa_system_vgpr_workitem_id 0
		.amdhsa_next_free_vgpr 12
		.amdhsa_next_free_sgpr 23
		.amdhsa_named_barrier_count 0
		.amdhsa_reserve_vcc 1
		.amdhsa_float_round_mode_32 0
		.amdhsa_float_round_mode_16_64 0
		.amdhsa_float_denorm_mode_32 3
		.amdhsa_float_denorm_mode_16_64 3
		.amdhsa_fp16_overflow 0
		.amdhsa_memory_ordered 1
		.amdhsa_forward_progress 1
		.amdhsa_inst_pref_size 6
		.amdhsa_round_robin_scheduling 0
		.amdhsa_exception_fp_ieee_invalid_op 0
		.amdhsa_exception_fp_denorm_src 0
		.amdhsa_exception_fp_ieee_div_zero 0
		.amdhsa_exception_fp_ieee_overflow 0
		.amdhsa_exception_fp_ieee_underflow 0
		.amdhsa_exception_fp_ieee_inexact 0
		.amdhsa_exception_int_div_zero 0
	.end_amdhsa_kernel
	.section	.text._ZN9rocsparseL19csxsldu_fill_kernelILj1024EL20rocsparse_diag_type_0ELS1_1E21rocsparse_complex_numIfEiiEEvT4_PKT3_PKS4_PKT2_21rocsparse_index_base_S7_PS4_PSA_SD_S7_SE_SF_SD_SF_,"axG",@progbits,_ZN9rocsparseL19csxsldu_fill_kernelILj1024EL20rocsparse_diag_type_0ELS1_1E21rocsparse_complex_numIfEiiEEvT4_PKT3_PKS4_PKT2_21rocsparse_index_base_S7_PS4_PSA_SD_S7_SE_SF_SD_SF_,comdat
.Lfunc_end11:
	.size	_ZN9rocsparseL19csxsldu_fill_kernelILj1024EL20rocsparse_diag_type_0ELS1_1E21rocsparse_complex_numIfEiiEEvT4_PKT3_PKS4_PKT2_21rocsparse_index_base_S7_PS4_PSA_SD_S7_SE_SF_SD_SF_, .Lfunc_end11-_ZN9rocsparseL19csxsldu_fill_kernelILj1024EL20rocsparse_diag_type_0ELS1_1E21rocsparse_complex_numIfEiiEEvT4_PKT3_PKS4_PKT2_21rocsparse_index_base_S7_PS4_PSA_SD_S7_SE_SF_SD_SF_
                                        ; -- End function
	.set _ZN9rocsparseL19csxsldu_fill_kernelILj1024EL20rocsparse_diag_type_0ELS1_1E21rocsparse_complex_numIfEiiEEvT4_PKT3_PKS4_PKT2_21rocsparse_index_base_S7_PS4_PSA_SD_S7_SE_SF_SD_SF_.num_vgpr, 12
	.set _ZN9rocsparseL19csxsldu_fill_kernelILj1024EL20rocsparse_diag_type_0ELS1_1E21rocsparse_complex_numIfEiiEEvT4_PKT3_PKS4_PKT2_21rocsparse_index_base_S7_PS4_PSA_SD_S7_SE_SF_SD_SF_.num_agpr, 0
	.set _ZN9rocsparseL19csxsldu_fill_kernelILj1024EL20rocsparse_diag_type_0ELS1_1E21rocsparse_complex_numIfEiiEEvT4_PKT3_PKS4_PKT2_21rocsparse_index_base_S7_PS4_PSA_SD_S7_SE_SF_SD_SF_.numbered_sgpr, 23
	.set _ZN9rocsparseL19csxsldu_fill_kernelILj1024EL20rocsparse_diag_type_0ELS1_1E21rocsparse_complex_numIfEiiEEvT4_PKT3_PKS4_PKT2_21rocsparse_index_base_S7_PS4_PSA_SD_S7_SE_SF_SD_SF_.num_named_barrier, 0
	.set _ZN9rocsparseL19csxsldu_fill_kernelILj1024EL20rocsparse_diag_type_0ELS1_1E21rocsparse_complex_numIfEiiEEvT4_PKT3_PKS4_PKT2_21rocsparse_index_base_S7_PS4_PSA_SD_S7_SE_SF_SD_SF_.private_seg_size, 0
	.set _ZN9rocsparseL19csxsldu_fill_kernelILj1024EL20rocsparse_diag_type_0ELS1_1E21rocsparse_complex_numIfEiiEEvT4_PKT3_PKS4_PKT2_21rocsparse_index_base_S7_PS4_PSA_SD_S7_SE_SF_SD_SF_.uses_vcc, 1
	.set _ZN9rocsparseL19csxsldu_fill_kernelILj1024EL20rocsparse_diag_type_0ELS1_1E21rocsparse_complex_numIfEiiEEvT4_PKT3_PKS4_PKT2_21rocsparse_index_base_S7_PS4_PSA_SD_S7_SE_SF_SD_SF_.uses_flat_scratch, 0
	.set _ZN9rocsparseL19csxsldu_fill_kernelILj1024EL20rocsparse_diag_type_0ELS1_1E21rocsparse_complex_numIfEiiEEvT4_PKT3_PKS4_PKT2_21rocsparse_index_base_S7_PS4_PSA_SD_S7_SE_SF_SD_SF_.has_dyn_sized_stack, 0
	.set _ZN9rocsparseL19csxsldu_fill_kernelILj1024EL20rocsparse_diag_type_0ELS1_1E21rocsparse_complex_numIfEiiEEvT4_PKT3_PKS4_PKT2_21rocsparse_index_base_S7_PS4_PSA_SD_S7_SE_SF_SD_SF_.has_recursion, 0
	.set _ZN9rocsparseL19csxsldu_fill_kernelILj1024EL20rocsparse_diag_type_0ELS1_1E21rocsparse_complex_numIfEiiEEvT4_PKT3_PKS4_PKT2_21rocsparse_index_base_S7_PS4_PSA_SD_S7_SE_SF_SD_SF_.has_indirect_call, 0
	.section	.AMDGPU.csdata,"",@progbits
; Kernel info:
; codeLenInByte = 664
; TotalNumSgprs: 25
; NumVgprs: 12
; ScratchSize: 0
; MemoryBound: 0
; FloatMode: 240
; IeeeMode: 1
; LDSByteSize: 0 bytes/workgroup (compile time only)
; SGPRBlocks: 0
; VGPRBlocks: 0
; NumSGPRsForWavesPerEU: 25
; NumVGPRsForWavesPerEU: 12
; NamedBarCnt: 0
; Occupancy: 16
; WaveLimiterHint : 0
; COMPUTE_PGM_RSRC2:SCRATCH_EN: 0
; COMPUTE_PGM_RSRC2:USER_SGPR: 2
; COMPUTE_PGM_RSRC2:TRAP_HANDLER: 0
; COMPUTE_PGM_RSRC2:TGID_X_EN: 1
; COMPUTE_PGM_RSRC2:TGID_Y_EN: 0
; COMPUTE_PGM_RSRC2:TGID_Z_EN: 0
; COMPUTE_PGM_RSRC2:TIDIG_COMP_CNT: 0
	.section	.text._ZN9rocsparseL19csxsldu_fill_kernelILj1024EL20rocsparse_diag_type_1ELS1_0E21rocsparse_complex_numIdEiiEEvT4_PKT3_PKS4_PKT2_21rocsparse_index_base_S7_PS4_PSA_SD_S7_SE_SF_SD_SF_,"axG",@progbits,_ZN9rocsparseL19csxsldu_fill_kernelILj1024EL20rocsparse_diag_type_1ELS1_0E21rocsparse_complex_numIdEiiEEvT4_PKT3_PKS4_PKT2_21rocsparse_index_base_S7_PS4_PSA_SD_S7_SE_SF_SD_SF_,comdat
	.globl	_ZN9rocsparseL19csxsldu_fill_kernelILj1024EL20rocsparse_diag_type_1ELS1_0E21rocsparse_complex_numIdEiiEEvT4_PKT3_PKS4_PKT2_21rocsparse_index_base_S7_PS4_PSA_SD_S7_SE_SF_SD_SF_ ; -- Begin function _ZN9rocsparseL19csxsldu_fill_kernelILj1024EL20rocsparse_diag_type_1ELS1_0E21rocsparse_complex_numIdEiiEEvT4_PKT3_PKS4_PKT2_21rocsparse_index_base_S7_PS4_PSA_SD_S7_SE_SF_SD_SF_
	.p2align	8
	.type	_ZN9rocsparseL19csxsldu_fill_kernelILj1024EL20rocsparse_diag_type_1ELS1_0E21rocsparse_complex_numIdEiiEEvT4_PKT3_PKS4_PKT2_21rocsparse_index_base_S7_PS4_PSA_SD_S7_SE_SF_SD_SF_,@function
_ZN9rocsparseL19csxsldu_fill_kernelILj1024EL20rocsparse_diag_type_1ELS1_0E21rocsparse_complex_numIdEiiEEvT4_PKT3_PKS4_PKT2_21rocsparse_index_base_S7_PS4_PSA_SD_S7_SE_SF_SD_SF_: ; @_ZN9rocsparseL19csxsldu_fill_kernelILj1024EL20rocsparse_diag_type_1ELS1_0E21rocsparse_complex_numIdEiiEEvT4_PKT3_PKS4_PKT2_21rocsparse_index_base_S7_PS4_PSA_SD_S7_SE_SF_SD_SF_
; %bb.0:
	s_clause 0x1
	s_load_b32 s2, s[0:1], 0x7c
	s_load_b32 s3, s[0:1], 0x0
	s_bfe_u32 s4, ttmp6, 0x4000c
	s_and_b32 s5, ttmp6, 15
	s_add_co_i32 s4, s4, 1
	s_getreg_b32 s6, hwreg(HW_REG_IB_STS2, 6, 4)
	s_mul_i32 s4, ttmp9, s4
	s_delay_alu instid0(SALU_CYCLE_1) | instskip(SKIP_4) | instid1(SALU_CYCLE_1)
	s_add_co_i32 s5, s5, s4
	s_wait_kmcnt 0x0
	s_and_b32 s2, s2, 0xffff
	s_cmp_eq_u32 s6, 0
	s_cselect_b32 s4, ttmp9, s5
	v_mad_u32 v2, s4, s2, v0
	s_mov_b32 s2, exec_lo
	s_delay_alu instid0(VALU_DEP_1)
	v_cmpx_gt_i32_e64 s3, v2
	s_cbranch_execz .LBB12_10
; %bb.1:
	s_clause 0x1
	s_load_b128 s[8:11], s[0:1], 0x8
	s_load_b128 s[4:7], s[0:1], 0x48
	v_ashrrev_i32_e32 v3, 31, v2
	s_clause 0x1
	s_load_b96 s[16:18], s[0:1], 0x18
	s_load_b64 s[2:3], s[0:1], 0x58
	s_wait_kmcnt 0x0
	v_lshl_add_u64 v[0:1], v[2:3], 2, s[8:9]
	global_load_b64 v[4:5], v[0:1], off
	global_load_b32 v9, v2, s[4:5] scale_offset
	s_wait_xcnt 0x0
	s_mov_b32 s4, exec_lo
	s_wait_loadcnt 0x1
	v_subrev_nc_u32_e32 v0, s18, v4
	v_subrev_nc_u32_e32 v8, s18, v5
	v_cmpx_lt_i32_e64 v4, v5
	s_cbranch_execz .LBB12_7
; %bb.2:
	s_clause 0x1
	s_load_b128 s[12:15], s[0:1], 0x28
	s_load_b96 s[20:22], s[0:1], 0x38
	v_ashrrev_i32_e32 v1, 31, v0
	s_mov_b32 s5, 0
                                        ; implicit-def: $sgpr8
	s_delay_alu instid0(VALU_DEP_1)
	v_lshl_add_u64 v[6:7], v[0:1], 4, s[16:17]
	s_wait_kmcnt 0x0
	v_lshl_add_u64 v[4:5], v[2:3], 2, s[12:13]
	global_load_b32 v3, v[4:5], off
	s_wait_xcnt 0x0
	v_lshl_add_u64 v[4:5], v[0:1], 2, s[10:11]
	s_wait_loadcnt 0x0
	v_subrev_nc_u32_e32 v1, s22, v3
	s_branch .LBB12_4
.LBB12_3:                               ;   in Loop: Header=BB12_4 Depth=1
	s_or_b32 exec_lo, exec_lo, s9
	s_delay_alu instid0(SALU_CYCLE_1) | instskip(NEXT) | instid1(SALU_CYCLE_1)
	s_and_b32 s9, exec_lo, s8
	s_or_b32 s5, s9, s5
	s_delay_alu instid0(SALU_CYCLE_1)
	s_and_not1_b32 exec_lo, exec_lo, s5
	s_cbranch_execz .LBB12_6
.LBB12_4:                               ; =>This Inner Loop Header: Depth=1
	global_load_b32 v3, v[4:5], off
	s_or_b32 s8, s8, exec_lo
	s_mov_b32 s9, exec_lo
	s_wait_loadcnt 0x0
	v_subrev_nc_u32_e32 v3, s18, v3
	s_wait_xcnt 0x0
	s_delay_alu instid0(VALU_DEP_1)
	v_cmpx_gt_i32_e64 v2, v3
	s_cbranch_execz .LBB12_3
; %bb.5:                                ;   in Loop: Header=BB12_4 Depth=1
	v_dual_add_nc_u32 v3, s22, v3 :: v_dual_add_nc_u32 v0, 1, v0
	v_add_nc_u64_e32 v[4:5], 4, v[4:5]
	s_and_not1_b32 s8, s8, exec_lo
	global_store_b32 v1, v3, s[14:15] scale_offset
	global_load_b128 v[10:13], v[6:7], off
	v_cmp_ge_i32_e32 vcc_lo, v0, v8
	s_wait_xcnt 0x0
	v_add_nc_u64_e32 v[6:7], 16, v[6:7]
	s_and_b32 s12, vcc_lo, exec_lo
	s_delay_alu instid0(SALU_CYCLE_1)
	s_or_b32 s8, s8, s12
	s_wait_loadcnt 0x0
	global_store_b128 v1, v[10:13], s[20:21] scale_offset
	s_wait_xcnt 0x0
	v_add_nc_u32_e32 v1, 1, v1
	s_branch .LBB12_3
.LBB12_6:
	s_or_b32 exec_lo, exec_lo, s5
.LBB12_7:
	s_delay_alu instid0(SALU_CYCLE_1) | instskip(NEXT) | instid1(VALU_DEP_2)
	s_or_b32 exec_lo, exec_lo, s4
	v_cmp_lt_i32_e32 vcc_lo, v0, v8
	s_and_b32 exec_lo, exec_lo, vcc_lo
	s_cbranch_execz .LBB12_10
; %bb.8:
	s_load_b32 s0, s[0:1], 0x60
	v_ashrrev_i32_e32 v1, 31, v0
	s_wait_xcnt 0x0
	s_mov_b32 s1, 0
	s_delay_alu instid0(VALU_DEP_1)
	v_lshl_add_u64 v[2:3], v[0:1], 2, s[10:11]
	v_lshl_add_u64 v[4:5], v[0:1], 4, s[16:17]
	s_wait_loadcnt 0x0
	s_wait_kmcnt 0x0
	v_subrev_nc_u32_e32 v1, s0, v9
	s_sub_co_i32 s0, s0, s18
.LBB12_9:                               ; =>This Inner Loop Header: Depth=1
	global_load_b32 v6, v[2:3], off
	s_wait_xcnt 0x0
	v_add_nc_u64_e32 v[2:3], 4, v[2:3]
	v_add_nc_u32_e32 v0, 1, v0
	s_delay_alu instid0(VALU_DEP_1)
	v_cmp_ge_i32_e32 vcc_lo, v0, v8
	s_or_b32 s1, vcc_lo, s1
	s_wait_loadcnt 0x0
	v_add_nc_u32_e32 v6, s0, v6
	global_store_b32 v1, v6, s[6:7] scale_offset
	global_load_b128 v[10:13], v[4:5], off
	s_wait_xcnt 0x0
	v_add_nc_u64_e32 v[4:5], 16, v[4:5]
	s_wait_loadcnt 0x0
	global_store_b128 v1, v[10:13], s[2:3] scale_offset
	s_wait_xcnt 0x0
	v_add_nc_u32_e32 v1, 1, v1
	s_and_not1_b32 exec_lo, exec_lo, s1
	s_cbranch_execnz .LBB12_9
.LBB12_10:
	s_endpgm
	.section	.rodata,"a",@progbits
	.p2align	6, 0x0
	.amdhsa_kernel _ZN9rocsparseL19csxsldu_fill_kernelILj1024EL20rocsparse_diag_type_1ELS1_0E21rocsparse_complex_numIdEiiEEvT4_PKT3_PKS4_PKT2_21rocsparse_index_base_S7_PS4_PSA_SD_S7_SE_SF_SD_SF_
		.amdhsa_group_segment_fixed_size 0
		.amdhsa_private_segment_fixed_size 0
		.amdhsa_kernarg_size 368
		.amdhsa_user_sgpr_count 2
		.amdhsa_user_sgpr_dispatch_ptr 0
		.amdhsa_user_sgpr_queue_ptr 0
		.amdhsa_user_sgpr_kernarg_segment_ptr 1
		.amdhsa_user_sgpr_dispatch_id 0
		.amdhsa_user_sgpr_kernarg_preload_length 0
		.amdhsa_user_sgpr_kernarg_preload_offset 0
		.amdhsa_user_sgpr_private_segment_size 0
		.amdhsa_wavefront_size32 1
		.amdhsa_uses_dynamic_stack 0
		.amdhsa_enable_private_segment 0
		.amdhsa_system_sgpr_workgroup_id_x 1
		.amdhsa_system_sgpr_workgroup_id_y 0
		.amdhsa_system_sgpr_workgroup_id_z 0
		.amdhsa_system_sgpr_workgroup_info 0
		.amdhsa_system_vgpr_workitem_id 0
		.amdhsa_next_free_vgpr 14
		.amdhsa_next_free_sgpr 23
		.amdhsa_named_barrier_count 0
		.amdhsa_reserve_vcc 1
		.amdhsa_float_round_mode_32 0
		.amdhsa_float_round_mode_16_64 0
		.amdhsa_float_denorm_mode_32 3
		.amdhsa_float_denorm_mode_16_64 3
		.amdhsa_fp16_overflow 0
		.amdhsa_memory_ordered 1
		.amdhsa_forward_progress 1
		.amdhsa_inst_pref_size 6
		.amdhsa_round_robin_scheduling 0
		.amdhsa_exception_fp_ieee_invalid_op 0
		.amdhsa_exception_fp_denorm_src 0
		.amdhsa_exception_fp_ieee_div_zero 0
		.amdhsa_exception_fp_ieee_overflow 0
		.amdhsa_exception_fp_ieee_underflow 0
		.amdhsa_exception_fp_ieee_inexact 0
		.amdhsa_exception_int_div_zero 0
	.end_amdhsa_kernel
	.section	.text._ZN9rocsparseL19csxsldu_fill_kernelILj1024EL20rocsparse_diag_type_1ELS1_0E21rocsparse_complex_numIdEiiEEvT4_PKT3_PKS4_PKT2_21rocsparse_index_base_S7_PS4_PSA_SD_S7_SE_SF_SD_SF_,"axG",@progbits,_ZN9rocsparseL19csxsldu_fill_kernelILj1024EL20rocsparse_diag_type_1ELS1_0E21rocsparse_complex_numIdEiiEEvT4_PKT3_PKS4_PKT2_21rocsparse_index_base_S7_PS4_PSA_SD_S7_SE_SF_SD_SF_,comdat
.Lfunc_end12:
	.size	_ZN9rocsparseL19csxsldu_fill_kernelILj1024EL20rocsparse_diag_type_1ELS1_0E21rocsparse_complex_numIdEiiEEvT4_PKT3_PKS4_PKT2_21rocsparse_index_base_S7_PS4_PSA_SD_S7_SE_SF_SD_SF_, .Lfunc_end12-_ZN9rocsparseL19csxsldu_fill_kernelILj1024EL20rocsparse_diag_type_1ELS1_0E21rocsparse_complex_numIdEiiEEvT4_PKT3_PKS4_PKT2_21rocsparse_index_base_S7_PS4_PSA_SD_S7_SE_SF_SD_SF_
                                        ; -- End function
	.set _ZN9rocsparseL19csxsldu_fill_kernelILj1024EL20rocsparse_diag_type_1ELS1_0E21rocsparse_complex_numIdEiiEEvT4_PKT3_PKS4_PKT2_21rocsparse_index_base_S7_PS4_PSA_SD_S7_SE_SF_SD_SF_.num_vgpr, 14
	.set _ZN9rocsparseL19csxsldu_fill_kernelILj1024EL20rocsparse_diag_type_1ELS1_0E21rocsparse_complex_numIdEiiEEvT4_PKT3_PKS4_PKT2_21rocsparse_index_base_S7_PS4_PSA_SD_S7_SE_SF_SD_SF_.num_agpr, 0
	.set _ZN9rocsparseL19csxsldu_fill_kernelILj1024EL20rocsparse_diag_type_1ELS1_0E21rocsparse_complex_numIdEiiEEvT4_PKT3_PKS4_PKT2_21rocsparse_index_base_S7_PS4_PSA_SD_S7_SE_SF_SD_SF_.numbered_sgpr, 23
	.set _ZN9rocsparseL19csxsldu_fill_kernelILj1024EL20rocsparse_diag_type_1ELS1_0E21rocsparse_complex_numIdEiiEEvT4_PKT3_PKS4_PKT2_21rocsparse_index_base_S7_PS4_PSA_SD_S7_SE_SF_SD_SF_.num_named_barrier, 0
	.set _ZN9rocsparseL19csxsldu_fill_kernelILj1024EL20rocsparse_diag_type_1ELS1_0E21rocsparse_complex_numIdEiiEEvT4_PKT3_PKS4_PKT2_21rocsparse_index_base_S7_PS4_PSA_SD_S7_SE_SF_SD_SF_.private_seg_size, 0
	.set _ZN9rocsparseL19csxsldu_fill_kernelILj1024EL20rocsparse_diag_type_1ELS1_0E21rocsparse_complex_numIdEiiEEvT4_PKT3_PKS4_PKT2_21rocsparse_index_base_S7_PS4_PSA_SD_S7_SE_SF_SD_SF_.uses_vcc, 1
	.set _ZN9rocsparseL19csxsldu_fill_kernelILj1024EL20rocsparse_diag_type_1ELS1_0E21rocsparse_complex_numIdEiiEEvT4_PKT3_PKS4_PKT2_21rocsparse_index_base_S7_PS4_PSA_SD_S7_SE_SF_SD_SF_.uses_flat_scratch, 0
	.set _ZN9rocsparseL19csxsldu_fill_kernelILj1024EL20rocsparse_diag_type_1ELS1_0E21rocsparse_complex_numIdEiiEEvT4_PKT3_PKS4_PKT2_21rocsparse_index_base_S7_PS4_PSA_SD_S7_SE_SF_SD_SF_.has_dyn_sized_stack, 0
	.set _ZN9rocsparseL19csxsldu_fill_kernelILj1024EL20rocsparse_diag_type_1ELS1_0E21rocsparse_complex_numIdEiiEEvT4_PKT3_PKS4_PKT2_21rocsparse_index_base_S7_PS4_PSA_SD_S7_SE_SF_SD_SF_.has_recursion, 0
	.set _ZN9rocsparseL19csxsldu_fill_kernelILj1024EL20rocsparse_diag_type_1ELS1_0E21rocsparse_complex_numIdEiiEEvT4_PKT3_PKS4_PKT2_21rocsparse_index_base_S7_PS4_PSA_SD_S7_SE_SF_SD_SF_.has_indirect_call, 0
	.section	.AMDGPU.csdata,"",@progbits
; Kernel info:
; codeLenInByte = 664
; TotalNumSgprs: 25
; NumVgprs: 14
; ScratchSize: 0
; MemoryBound: 0
; FloatMode: 240
; IeeeMode: 1
; LDSByteSize: 0 bytes/workgroup (compile time only)
; SGPRBlocks: 0
; VGPRBlocks: 0
; NumSGPRsForWavesPerEU: 25
; NumVGPRsForWavesPerEU: 14
; NamedBarCnt: 0
; Occupancy: 16
; WaveLimiterHint : 0
; COMPUTE_PGM_RSRC2:SCRATCH_EN: 0
; COMPUTE_PGM_RSRC2:USER_SGPR: 2
; COMPUTE_PGM_RSRC2:TRAP_HANDLER: 0
; COMPUTE_PGM_RSRC2:TGID_X_EN: 1
; COMPUTE_PGM_RSRC2:TGID_Y_EN: 0
; COMPUTE_PGM_RSRC2:TGID_Z_EN: 0
; COMPUTE_PGM_RSRC2:TIDIG_COMP_CNT: 0
	.section	.text._ZN9rocsparseL19csxsldu_fill_kernelILj1024EL20rocsparse_diag_type_1ELS1_1E21rocsparse_complex_numIdEiiEEvT4_PKT3_PKS4_PKT2_21rocsparse_index_base_S7_PS4_PSA_SD_S7_SE_SF_SD_SF_,"axG",@progbits,_ZN9rocsparseL19csxsldu_fill_kernelILj1024EL20rocsparse_diag_type_1ELS1_1E21rocsparse_complex_numIdEiiEEvT4_PKT3_PKS4_PKT2_21rocsparse_index_base_S7_PS4_PSA_SD_S7_SE_SF_SD_SF_,comdat
	.globl	_ZN9rocsparseL19csxsldu_fill_kernelILj1024EL20rocsparse_diag_type_1ELS1_1E21rocsparse_complex_numIdEiiEEvT4_PKT3_PKS4_PKT2_21rocsparse_index_base_S7_PS4_PSA_SD_S7_SE_SF_SD_SF_ ; -- Begin function _ZN9rocsparseL19csxsldu_fill_kernelILj1024EL20rocsparse_diag_type_1ELS1_1E21rocsparse_complex_numIdEiiEEvT4_PKT3_PKS4_PKT2_21rocsparse_index_base_S7_PS4_PSA_SD_S7_SE_SF_SD_SF_
	.p2align	8
	.type	_ZN9rocsparseL19csxsldu_fill_kernelILj1024EL20rocsparse_diag_type_1ELS1_1E21rocsparse_complex_numIdEiiEEvT4_PKT3_PKS4_PKT2_21rocsparse_index_base_S7_PS4_PSA_SD_S7_SE_SF_SD_SF_,@function
_ZN9rocsparseL19csxsldu_fill_kernelILj1024EL20rocsparse_diag_type_1ELS1_1E21rocsparse_complex_numIdEiiEEvT4_PKT3_PKS4_PKT2_21rocsparse_index_base_S7_PS4_PSA_SD_S7_SE_SF_SD_SF_: ; @_ZN9rocsparseL19csxsldu_fill_kernelILj1024EL20rocsparse_diag_type_1ELS1_1E21rocsparse_complex_numIdEiiEEvT4_PKT3_PKS4_PKT2_21rocsparse_index_base_S7_PS4_PSA_SD_S7_SE_SF_SD_SF_
; %bb.0:
	s_clause 0x1
	s_load_b32 s2, s[0:1], 0x7c
	s_load_b32 s3, s[0:1], 0x0
	s_bfe_u32 s4, ttmp6, 0x4000c
	s_and_b32 s5, ttmp6, 15
	s_add_co_i32 s4, s4, 1
	s_getreg_b32 s6, hwreg(HW_REG_IB_STS2, 6, 4)
	s_mul_i32 s4, ttmp9, s4
	s_delay_alu instid0(SALU_CYCLE_1) | instskip(SKIP_4) | instid1(SALU_CYCLE_1)
	s_add_co_i32 s5, s5, s4
	s_wait_kmcnt 0x0
	s_and_b32 s2, s2, 0xffff
	s_cmp_eq_u32 s6, 0
	s_cselect_b32 s4, ttmp9, s5
	v_mad_u32 v2, s4, s2, v0
	s_mov_b32 s2, exec_lo
	s_delay_alu instid0(VALU_DEP_1)
	v_cmpx_gt_i32_e64 s3, v2
	s_cbranch_execz .LBB13_14
; %bb.1:
	s_clause 0x1
	s_load_b128 s[8:11], s[0:1], 0x8
	s_load_b128 s[4:7], s[0:1], 0x48
	v_ashrrev_i32_e32 v3, 31, v2
	s_clause 0x1
	s_load_b96 s[16:18], s[0:1], 0x18
	s_load_b64 s[2:3], s[0:1], 0x58
	s_wait_kmcnt 0x0
	v_lshl_add_u64 v[0:1], v[2:3], 2, s[8:9]
	global_load_b64 v[4:5], v[0:1], off
	global_load_b32 v11, v2, s[4:5] scale_offset
	s_wait_xcnt 0x0
	s_mov_b32 s4, exec_lo
	s_wait_loadcnt 0x1
	v_subrev_nc_u32_e32 v0, s18, v4
	v_subrev_nc_u32_e32 v10, s18, v5
	v_cmpx_lt_i32_e64 v4, v5
	s_cbranch_execz .LBB13_11
; %bb.2:
	s_clause 0x1
	s_load_b128 s[12:15], s[0:1], 0x28
	s_load_b96 s[20:22], s[0:1], 0x38
	v_ashrrev_i32_e32 v1, 31, v0
	s_mov_b32 s8, 0
                                        ; implicit-def: $sgpr5
                                        ; implicit-def: $sgpr9
	s_delay_alu instid0(VALU_DEP_1)
	v_lshl_add_u64 v[6:7], v[0:1], 2, s[10:11]
	v_lshl_add_u64 v[8:9], v[0:1], 4, s[16:17]
	s_wait_kmcnt 0x0
	v_lshl_add_u64 v[4:5], v[2:3], 2, s[12:13]
                                        ; implicit-def: $sgpr12
	global_load_b32 v4, v[4:5], off
	s_wait_loadcnt 0x0
	v_subrev_nc_u32_e32 v12, s22, v4
	s_branch .LBB13_4
.LBB13_3:                               ;   in Loop: Header=BB13_4 Depth=1
	s_or_b32 exec_lo, exec_lo, s13
	s_delay_alu instid0(SALU_CYCLE_1) | instskip(NEXT) | instid1(SALU_CYCLE_1)
	s_and_b32 s13, exec_lo, s12
	s_or_b32 s8, s13, s8
	s_and_not1_b32 s5, s5, exec_lo
	s_and_b32 s13, s9, exec_lo
	s_delay_alu instid0(SALU_CYCLE_1)
	s_or_b32 s5, s5, s13
	s_and_not1_b32 exec_lo, exec_lo, s8
	s_cbranch_execz .LBB13_6
.LBB13_4:                               ; =>This Inner Loop Header: Depth=1
	global_load_b32 v4, v[6:7], off
	s_or_b32 s9, s9, exec_lo
	s_or_b32 s12, s12, exec_lo
	s_mov_b32 s13, exec_lo
	s_wait_loadcnt 0x0
	v_subrev_nc_u32_e32 v13, s18, v4
	v_mov_b64_e32 v[4:5], v[0:1]
                                        ; implicit-def: $vgpr0_vgpr1
	s_wait_xcnt 0x0
	s_delay_alu instid0(VALU_DEP_2)
	v_cmpx_gt_i32_e64 v2, v13
	s_cbranch_execz .LBB13_3
; %bb.5:                                ;   in Loop: Header=BB13_4 Depth=1
	v_add_nc_u32_e32 v0, s22, v13
	v_add_nc_u64_e32 v[6:7], 4, v[6:7]
	s_and_not1_b32 s12, s12, exec_lo
	s_and_not1_b32 s9, s9, exec_lo
	global_store_b32 v12, v0, s[14:15] scale_offset
	global_load_b128 v[14:17], v[8:9], off
	s_wait_xcnt 0x1
	v_add_nc_u64_e32 v[0:1], 1, v[4:5]
	s_wait_xcnt 0x0
	v_add_nc_u64_e32 v[8:9], 16, v[8:9]
	s_delay_alu instid0(VALU_DEP_2) | instskip(SKIP_1) | instid1(SALU_CYCLE_1)
	v_cmp_ge_i32_e32 vcc_lo, v0, v10
	s_and_b32 s19, vcc_lo, exec_lo
	s_or_b32 s12, s12, s19
	s_wait_loadcnt 0x0
	global_store_b128 v12, v[14:17], s[20:21] scale_offset
	s_wait_xcnt 0x0
	v_add_nc_u32_e32 v12, 1, v12
	s_branch .LBB13_3
.LBB13_6:
	s_or_b32 exec_lo, exec_lo, s8
	s_and_saveexec_b32 s8, s5
	s_delay_alu instid0(SALU_CYCLE_1)
	s_xor_b32 s5, exec_lo, s8
	s_cbranch_execz .LBB13_10
; %bb.7:
	s_mov_b32 s8, exec_lo
	v_cmpx_eq_u32_e64 v13, v2
	s_cbranch_execz .LBB13_9
; %bb.8:
	v_lshl_add_u64 v[0:1], v[4:5], 4, s[16:17]
	s_load_b64 s[12:13], s[0:1], 0x68
	v_add_nc_u32_e32 v4, 1, v4
	global_load_b128 v[6:9], v[0:1], off
	s_wait_kmcnt 0x0
	v_lshl_add_u64 v[0:1], v[2:3], 4, s[12:13]
	s_wait_loadcnt 0x0
	global_store_b128 v[0:1], v[6:9], off
.LBB13_9:
	s_wait_xcnt 0x0
	s_or_b32 exec_lo, exec_lo, s8
	v_mov_b32_e32 v0, v4
.LBB13_10:
	s_or_b32 exec_lo, exec_lo, s5
.LBB13_11:
	s_delay_alu instid0(SALU_CYCLE_1) | instskip(NEXT) | instid1(VALU_DEP_1)
	s_or_b32 exec_lo, exec_lo, s4
	v_cmp_lt_i32_e32 vcc_lo, v0, v10
	s_and_b32 exec_lo, exec_lo, vcc_lo
	s_cbranch_execz .LBB13_14
; %bb.12:
	s_load_b32 s0, s[0:1], 0x60
	v_ashrrev_i32_e32 v1, 31, v0
	s_wait_xcnt 0x0
	s_mov_b32 s1, 0
	s_delay_alu instid0(VALU_DEP_1)
	v_lshl_add_u64 v[2:3], v[0:1], 2, s[10:11]
	v_lshl_add_u64 v[4:5], v[0:1], 4, s[16:17]
	s_wait_loadcnt 0x0
	s_wait_kmcnt 0x0
	v_subrev_nc_u32_e32 v1, s0, v11
	s_sub_co_i32 s0, s0, s18
.LBB13_13:                              ; =>This Inner Loop Header: Depth=1
	global_load_b32 v6, v[2:3], off
	s_wait_xcnt 0x0
	v_add_nc_u64_e32 v[2:3], 4, v[2:3]
	v_add_nc_u32_e32 v0, 1, v0
	s_delay_alu instid0(VALU_DEP_1)
	v_cmp_ge_i32_e32 vcc_lo, v0, v10
	s_or_b32 s1, vcc_lo, s1
	s_wait_loadcnt 0x0
	v_add_nc_u32_e32 v6, s0, v6
	global_store_b32 v1, v6, s[6:7] scale_offset
	global_load_b128 v[6:9], v[4:5], off
	s_wait_xcnt 0x0
	v_add_nc_u64_e32 v[4:5], 16, v[4:5]
	s_wait_loadcnt 0x0
	global_store_b128 v1, v[6:9], s[2:3] scale_offset
	s_wait_xcnt 0x0
	v_add_nc_u32_e32 v1, 1, v1
	s_and_not1_b32 exec_lo, exec_lo, s1
	s_cbranch_execnz .LBB13_13
.LBB13_14:
	s_endpgm
	.section	.rodata,"a",@progbits
	.p2align	6, 0x0
	.amdhsa_kernel _ZN9rocsparseL19csxsldu_fill_kernelILj1024EL20rocsparse_diag_type_1ELS1_1E21rocsparse_complex_numIdEiiEEvT4_PKT3_PKS4_PKT2_21rocsparse_index_base_S7_PS4_PSA_SD_S7_SE_SF_SD_SF_
		.amdhsa_group_segment_fixed_size 0
		.amdhsa_private_segment_fixed_size 0
		.amdhsa_kernarg_size 368
		.amdhsa_user_sgpr_count 2
		.amdhsa_user_sgpr_dispatch_ptr 0
		.amdhsa_user_sgpr_queue_ptr 0
		.amdhsa_user_sgpr_kernarg_segment_ptr 1
		.amdhsa_user_sgpr_dispatch_id 0
		.amdhsa_user_sgpr_kernarg_preload_length 0
		.amdhsa_user_sgpr_kernarg_preload_offset 0
		.amdhsa_user_sgpr_private_segment_size 0
		.amdhsa_wavefront_size32 1
		.amdhsa_uses_dynamic_stack 0
		.amdhsa_enable_private_segment 0
		.amdhsa_system_sgpr_workgroup_id_x 1
		.amdhsa_system_sgpr_workgroup_id_y 0
		.amdhsa_system_sgpr_workgroup_id_z 0
		.amdhsa_system_sgpr_workgroup_info 0
		.amdhsa_system_vgpr_workitem_id 0
		.amdhsa_next_free_vgpr 18
		.amdhsa_next_free_sgpr 23
		.amdhsa_named_barrier_count 0
		.amdhsa_reserve_vcc 1
		.amdhsa_float_round_mode_32 0
		.amdhsa_float_round_mode_16_64 0
		.amdhsa_float_denorm_mode_32 3
		.amdhsa_float_denorm_mode_16_64 3
		.amdhsa_fp16_overflow 0
		.amdhsa_memory_ordered 1
		.amdhsa_forward_progress 1
		.amdhsa_inst_pref_size 7
		.amdhsa_round_robin_scheduling 0
		.amdhsa_exception_fp_ieee_invalid_op 0
		.amdhsa_exception_fp_denorm_src 0
		.amdhsa_exception_fp_ieee_div_zero 0
		.amdhsa_exception_fp_ieee_overflow 0
		.amdhsa_exception_fp_ieee_underflow 0
		.amdhsa_exception_fp_ieee_inexact 0
		.amdhsa_exception_int_div_zero 0
	.end_amdhsa_kernel
	.section	.text._ZN9rocsparseL19csxsldu_fill_kernelILj1024EL20rocsparse_diag_type_1ELS1_1E21rocsparse_complex_numIdEiiEEvT4_PKT3_PKS4_PKT2_21rocsparse_index_base_S7_PS4_PSA_SD_S7_SE_SF_SD_SF_,"axG",@progbits,_ZN9rocsparseL19csxsldu_fill_kernelILj1024EL20rocsparse_diag_type_1ELS1_1E21rocsparse_complex_numIdEiiEEvT4_PKT3_PKS4_PKT2_21rocsparse_index_base_S7_PS4_PSA_SD_S7_SE_SF_SD_SF_,comdat
.Lfunc_end13:
	.size	_ZN9rocsparseL19csxsldu_fill_kernelILj1024EL20rocsparse_diag_type_1ELS1_1E21rocsparse_complex_numIdEiiEEvT4_PKT3_PKS4_PKT2_21rocsparse_index_base_S7_PS4_PSA_SD_S7_SE_SF_SD_SF_, .Lfunc_end13-_ZN9rocsparseL19csxsldu_fill_kernelILj1024EL20rocsparse_diag_type_1ELS1_1E21rocsparse_complex_numIdEiiEEvT4_PKT3_PKS4_PKT2_21rocsparse_index_base_S7_PS4_PSA_SD_S7_SE_SF_SD_SF_
                                        ; -- End function
	.set _ZN9rocsparseL19csxsldu_fill_kernelILj1024EL20rocsparse_diag_type_1ELS1_1E21rocsparse_complex_numIdEiiEEvT4_PKT3_PKS4_PKT2_21rocsparse_index_base_S7_PS4_PSA_SD_S7_SE_SF_SD_SF_.num_vgpr, 18
	.set _ZN9rocsparseL19csxsldu_fill_kernelILj1024EL20rocsparse_diag_type_1ELS1_1E21rocsparse_complex_numIdEiiEEvT4_PKT3_PKS4_PKT2_21rocsparse_index_base_S7_PS4_PSA_SD_S7_SE_SF_SD_SF_.num_agpr, 0
	.set _ZN9rocsparseL19csxsldu_fill_kernelILj1024EL20rocsparse_diag_type_1ELS1_1E21rocsparse_complex_numIdEiiEEvT4_PKT3_PKS4_PKT2_21rocsparse_index_base_S7_PS4_PSA_SD_S7_SE_SF_SD_SF_.numbered_sgpr, 23
	.set _ZN9rocsparseL19csxsldu_fill_kernelILj1024EL20rocsparse_diag_type_1ELS1_1E21rocsparse_complex_numIdEiiEEvT4_PKT3_PKS4_PKT2_21rocsparse_index_base_S7_PS4_PSA_SD_S7_SE_SF_SD_SF_.num_named_barrier, 0
	.set _ZN9rocsparseL19csxsldu_fill_kernelILj1024EL20rocsparse_diag_type_1ELS1_1E21rocsparse_complex_numIdEiiEEvT4_PKT3_PKS4_PKT2_21rocsparse_index_base_S7_PS4_PSA_SD_S7_SE_SF_SD_SF_.private_seg_size, 0
	.set _ZN9rocsparseL19csxsldu_fill_kernelILj1024EL20rocsparse_diag_type_1ELS1_1E21rocsparse_complex_numIdEiiEEvT4_PKT3_PKS4_PKT2_21rocsparse_index_base_S7_PS4_PSA_SD_S7_SE_SF_SD_SF_.uses_vcc, 1
	.set _ZN9rocsparseL19csxsldu_fill_kernelILj1024EL20rocsparse_diag_type_1ELS1_1E21rocsparse_complex_numIdEiiEEvT4_PKT3_PKS4_PKT2_21rocsparse_index_base_S7_PS4_PSA_SD_S7_SE_SF_SD_SF_.uses_flat_scratch, 0
	.set _ZN9rocsparseL19csxsldu_fill_kernelILj1024EL20rocsparse_diag_type_1ELS1_1E21rocsparse_complex_numIdEiiEEvT4_PKT3_PKS4_PKT2_21rocsparse_index_base_S7_PS4_PSA_SD_S7_SE_SF_SD_SF_.has_dyn_sized_stack, 0
	.set _ZN9rocsparseL19csxsldu_fill_kernelILj1024EL20rocsparse_diag_type_1ELS1_1E21rocsparse_complex_numIdEiiEEvT4_PKT3_PKS4_PKT2_21rocsparse_index_base_S7_PS4_PSA_SD_S7_SE_SF_SD_SF_.has_recursion, 0
	.set _ZN9rocsparseL19csxsldu_fill_kernelILj1024EL20rocsparse_diag_type_1ELS1_1E21rocsparse_complex_numIdEiiEEvT4_PKT3_PKS4_PKT2_21rocsparse_index_base_S7_PS4_PSA_SD_S7_SE_SF_SD_SF_.has_indirect_call, 0
	.section	.AMDGPU.csdata,"",@progbits
; Kernel info:
; codeLenInByte = 792
; TotalNumSgprs: 25
; NumVgprs: 18
; ScratchSize: 0
; MemoryBound: 0
; FloatMode: 240
; IeeeMode: 1
; LDSByteSize: 0 bytes/workgroup (compile time only)
; SGPRBlocks: 0
; VGPRBlocks: 1
; NumSGPRsForWavesPerEU: 25
; NumVGPRsForWavesPerEU: 18
; NamedBarCnt: 0
; Occupancy: 16
; WaveLimiterHint : 0
; COMPUTE_PGM_RSRC2:SCRATCH_EN: 0
; COMPUTE_PGM_RSRC2:USER_SGPR: 2
; COMPUTE_PGM_RSRC2:TRAP_HANDLER: 0
; COMPUTE_PGM_RSRC2:TGID_X_EN: 1
; COMPUTE_PGM_RSRC2:TGID_Y_EN: 0
; COMPUTE_PGM_RSRC2:TGID_Z_EN: 0
; COMPUTE_PGM_RSRC2:TIDIG_COMP_CNT: 0
	.section	.text._ZN9rocsparseL19csxsldu_fill_kernelILj1024EL20rocsparse_diag_type_0ELS1_1E21rocsparse_complex_numIdEiiEEvT4_PKT3_PKS4_PKT2_21rocsparse_index_base_S7_PS4_PSA_SD_S7_SE_SF_SD_SF_,"axG",@progbits,_ZN9rocsparseL19csxsldu_fill_kernelILj1024EL20rocsparse_diag_type_0ELS1_1E21rocsparse_complex_numIdEiiEEvT4_PKT3_PKS4_PKT2_21rocsparse_index_base_S7_PS4_PSA_SD_S7_SE_SF_SD_SF_,comdat
	.globl	_ZN9rocsparseL19csxsldu_fill_kernelILj1024EL20rocsparse_diag_type_0ELS1_1E21rocsparse_complex_numIdEiiEEvT4_PKT3_PKS4_PKT2_21rocsparse_index_base_S7_PS4_PSA_SD_S7_SE_SF_SD_SF_ ; -- Begin function _ZN9rocsparseL19csxsldu_fill_kernelILj1024EL20rocsparse_diag_type_0ELS1_1E21rocsparse_complex_numIdEiiEEvT4_PKT3_PKS4_PKT2_21rocsparse_index_base_S7_PS4_PSA_SD_S7_SE_SF_SD_SF_
	.p2align	8
	.type	_ZN9rocsparseL19csxsldu_fill_kernelILj1024EL20rocsparse_diag_type_0ELS1_1E21rocsparse_complex_numIdEiiEEvT4_PKT3_PKS4_PKT2_21rocsparse_index_base_S7_PS4_PSA_SD_S7_SE_SF_SD_SF_,@function
_ZN9rocsparseL19csxsldu_fill_kernelILj1024EL20rocsparse_diag_type_0ELS1_1E21rocsparse_complex_numIdEiiEEvT4_PKT3_PKS4_PKT2_21rocsparse_index_base_S7_PS4_PSA_SD_S7_SE_SF_SD_SF_: ; @_ZN9rocsparseL19csxsldu_fill_kernelILj1024EL20rocsparse_diag_type_0ELS1_1E21rocsparse_complex_numIdEiiEEvT4_PKT3_PKS4_PKT2_21rocsparse_index_base_S7_PS4_PSA_SD_S7_SE_SF_SD_SF_
; %bb.0:
	s_clause 0x1
	s_load_b32 s2, s[0:1], 0x7c
	s_load_b32 s3, s[0:1], 0x0
	s_bfe_u32 s4, ttmp6, 0x4000c
	s_and_b32 s5, ttmp6, 15
	s_add_co_i32 s4, s4, 1
	s_getreg_b32 s6, hwreg(HW_REG_IB_STS2, 6, 4)
	s_mul_i32 s4, ttmp9, s4
	s_delay_alu instid0(SALU_CYCLE_1) | instskip(SKIP_4) | instid1(SALU_CYCLE_1)
	s_add_co_i32 s5, s5, s4
	s_wait_kmcnt 0x0
	s_and_b32 s2, s2, 0xffff
	s_cmp_eq_u32 s6, 0
	s_cselect_b32 s4, ttmp9, s5
	v_mad_u32 v2, s4, s2, v0
	s_mov_b32 s2, exec_lo
	s_delay_alu instid0(VALU_DEP_1)
	v_cmpx_gt_i32_e64 s3, v2
	s_cbranch_execz .LBB14_10
; %bb.1:
	s_clause 0x1
	s_load_b128 s[8:11], s[0:1], 0x8
	s_load_b128 s[4:7], s[0:1], 0x48
	v_ashrrev_i32_e32 v3, 31, v2
	s_clause 0x1
	s_load_b96 s[16:18], s[0:1], 0x18
	s_load_b64 s[2:3], s[0:1], 0x58
	s_wait_kmcnt 0x0
	v_lshl_add_u64 v[0:1], v[2:3], 2, s[8:9]
	global_load_b64 v[4:5], v[0:1], off
	global_load_b32 v9, v2, s[4:5] scale_offset
	s_wait_xcnt 0x0
	s_mov_b32 s4, exec_lo
	s_wait_loadcnt 0x1
	v_subrev_nc_u32_e32 v0, s18, v4
	v_subrev_nc_u32_e32 v8, s18, v5
	v_cmpx_lt_i32_e64 v4, v5
	s_cbranch_execz .LBB14_7
; %bb.2:
	s_clause 0x1
	s_load_b128 s[12:15], s[0:1], 0x28
	s_load_b96 s[20:22], s[0:1], 0x38
	v_ashrrev_i32_e32 v1, 31, v0
	s_mov_b32 s5, 0
                                        ; implicit-def: $sgpr8
	s_delay_alu instid0(VALU_DEP_1)
	v_lshl_add_u64 v[6:7], v[0:1], 4, s[16:17]
	s_wait_kmcnt 0x0
	v_lshl_add_u64 v[4:5], v[2:3], 2, s[12:13]
	global_load_b32 v3, v[4:5], off
	s_wait_xcnt 0x0
	v_lshl_add_u64 v[4:5], v[0:1], 2, s[10:11]
	s_wait_loadcnt 0x0
	v_subrev_nc_u32_e32 v1, s22, v3
	s_branch .LBB14_4
.LBB14_3:                               ;   in Loop: Header=BB14_4 Depth=1
	s_or_b32 exec_lo, exec_lo, s9
	s_delay_alu instid0(SALU_CYCLE_1) | instskip(NEXT) | instid1(SALU_CYCLE_1)
	s_and_b32 s9, exec_lo, s8
	s_or_b32 s5, s9, s5
	s_delay_alu instid0(SALU_CYCLE_1)
	s_and_not1_b32 exec_lo, exec_lo, s5
	s_cbranch_execz .LBB14_6
.LBB14_4:                               ; =>This Inner Loop Header: Depth=1
	global_load_b32 v3, v[4:5], off
	s_or_b32 s8, s8, exec_lo
	s_mov_b32 s9, exec_lo
	s_wait_loadcnt 0x0
	v_subrev_nc_u32_e32 v3, s18, v3
	s_wait_xcnt 0x0
	s_delay_alu instid0(VALU_DEP_1)
	v_cmpx_ge_i32_e64 v2, v3
	s_cbranch_execz .LBB14_3
; %bb.5:                                ;   in Loop: Header=BB14_4 Depth=1
	v_dual_add_nc_u32 v3, s22, v3 :: v_dual_add_nc_u32 v0, 1, v0
	v_add_nc_u64_e32 v[4:5], 4, v[4:5]
	s_and_not1_b32 s8, s8, exec_lo
	global_store_b32 v1, v3, s[14:15] scale_offset
	global_load_b128 v[10:13], v[6:7], off
	v_cmp_ge_i32_e32 vcc_lo, v0, v8
	s_wait_xcnt 0x0
	v_add_nc_u64_e32 v[6:7], 16, v[6:7]
	s_and_b32 s12, vcc_lo, exec_lo
	s_delay_alu instid0(SALU_CYCLE_1)
	s_or_b32 s8, s8, s12
	s_wait_loadcnt 0x0
	global_store_b128 v1, v[10:13], s[20:21] scale_offset
	s_wait_xcnt 0x0
	v_add_nc_u32_e32 v1, 1, v1
	s_branch .LBB14_3
.LBB14_6:
	s_or_b32 exec_lo, exec_lo, s5
.LBB14_7:
	s_delay_alu instid0(SALU_CYCLE_1) | instskip(NEXT) | instid1(VALU_DEP_2)
	s_or_b32 exec_lo, exec_lo, s4
	v_cmp_lt_i32_e32 vcc_lo, v0, v8
	s_and_b32 exec_lo, exec_lo, vcc_lo
	s_cbranch_execz .LBB14_10
; %bb.8:
	s_load_b32 s0, s[0:1], 0x60
	v_ashrrev_i32_e32 v1, 31, v0
	s_wait_xcnt 0x0
	s_mov_b32 s1, 0
	s_delay_alu instid0(VALU_DEP_1)
	v_lshl_add_u64 v[2:3], v[0:1], 2, s[10:11]
	v_lshl_add_u64 v[4:5], v[0:1], 4, s[16:17]
	s_wait_loadcnt 0x0
	s_wait_kmcnt 0x0
	v_subrev_nc_u32_e32 v1, s0, v9
	s_sub_co_i32 s0, s0, s18
.LBB14_9:                               ; =>This Inner Loop Header: Depth=1
	global_load_b32 v6, v[2:3], off
	s_wait_xcnt 0x0
	v_add_nc_u64_e32 v[2:3], 4, v[2:3]
	v_add_nc_u32_e32 v0, 1, v0
	s_delay_alu instid0(VALU_DEP_1)
	v_cmp_ge_i32_e32 vcc_lo, v0, v8
	s_or_b32 s1, vcc_lo, s1
	s_wait_loadcnt 0x0
	v_add_nc_u32_e32 v6, s0, v6
	global_store_b32 v1, v6, s[6:7] scale_offset
	global_load_b128 v[10:13], v[4:5], off
	s_wait_xcnt 0x0
	v_add_nc_u64_e32 v[4:5], 16, v[4:5]
	s_wait_loadcnt 0x0
	global_store_b128 v1, v[10:13], s[2:3] scale_offset
	s_wait_xcnt 0x0
	v_add_nc_u32_e32 v1, 1, v1
	s_and_not1_b32 exec_lo, exec_lo, s1
	s_cbranch_execnz .LBB14_9
.LBB14_10:
	s_endpgm
	.section	.rodata,"a",@progbits
	.p2align	6, 0x0
	.amdhsa_kernel _ZN9rocsparseL19csxsldu_fill_kernelILj1024EL20rocsparse_diag_type_0ELS1_1E21rocsparse_complex_numIdEiiEEvT4_PKT3_PKS4_PKT2_21rocsparse_index_base_S7_PS4_PSA_SD_S7_SE_SF_SD_SF_
		.amdhsa_group_segment_fixed_size 0
		.amdhsa_private_segment_fixed_size 0
		.amdhsa_kernarg_size 368
		.amdhsa_user_sgpr_count 2
		.amdhsa_user_sgpr_dispatch_ptr 0
		.amdhsa_user_sgpr_queue_ptr 0
		.amdhsa_user_sgpr_kernarg_segment_ptr 1
		.amdhsa_user_sgpr_dispatch_id 0
		.amdhsa_user_sgpr_kernarg_preload_length 0
		.amdhsa_user_sgpr_kernarg_preload_offset 0
		.amdhsa_user_sgpr_private_segment_size 0
		.amdhsa_wavefront_size32 1
		.amdhsa_uses_dynamic_stack 0
		.amdhsa_enable_private_segment 0
		.amdhsa_system_sgpr_workgroup_id_x 1
		.amdhsa_system_sgpr_workgroup_id_y 0
		.amdhsa_system_sgpr_workgroup_id_z 0
		.amdhsa_system_sgpr_workgroup_info 0
		.amdhsa_system_vgpr_workitem_id 0
		.amdhsa_next_free_vgpr 14
		.amdhsa_next_free_sgpr 23
		.amdhsa_named_barrier_count 0
		.amdhsa_reserve_vcc 1
		.amdhsa_float_round_mode_32 0
		.amdhsa_float_round_mode_16_64 0
		.amdhsa_float_denorm_mode_32 3
		.amdhsa_float_denorm_mode_16_64 3
		.amdhsa_fp16_overflow 0
		.amdhsa_memory_ordered 1
		.amdhsa_forward_progress 1
		.amdhsa_inst_pref_size 6
		.amdhsa_round_robin_scheduling 0
		.amdhsa_exception_fp_ieee_invalid_op 0
		.amdhsa_exception_fp_denorm_src 0
		.amdhsa_exception_fp_ieee_div_zero 0
		.amdhsa_exception_fp_ieee_overflow 0
		.amdhsa_exception_fp_ieee_underflow 0
		.amdhsa_exception_fp_ieee_inexact 0
		.amdhsa_exception_int_div_zero 0
	.end_amdhsa_kernel
	.section	.text._ZN9rocsparseL19csxsldu_fill_kernelILj1024EL20rocsparse_diag_type_0ELS1_1E21rocsparse_complex_numIdEiiEEvT4_PKT3_PKS4_PKT2_21rocsparse_index_base_S7_PS4_PSA_SD_S7_SE_SF_SD_SF_,"axG",@progbits,_ZN9rocsparseL19csxsldu_fill_kernelILj1024EL20rocsparse_diag_type_0ELS1_1E21rocsparse_complex_numIdEiiEEvT4_PKT3_PKS4_PKT2_21rocsparse_index_base_S7_PS4_PSA_SD_S7_SE_SF_SD_SF_,comdat
.Lfunc_end14:
	.size	_ZN9rocsparseL19csxsldu_fill_kernelILj1024EL20rocsparse_diag_type_0ELS1_1E21rocsparse_complex_numIdEiiEEvT4_PKT3_PKS4_PKT2_21rocsparse_index_base_S7_PS4_PSA_SD_S7_SE_SF_SD_SF_, .Lfunc_end14-_ZN9rocsparseL19csxsldu_fill_kernelILj1024EL20rocsparse_diag_type_0ELS1_1E21rocsparse_complex_numIdEiiEEvT4_PKT3_PKS4_PKT2_21rocsparse_index_base_S7_PS4_PSA_SD_S7_SE_SF_SD_SF_
                                        ; -- End function
	.set _ZN9rocsparseL19csxsldu_fill_kernelILj1024EL20rocsparse_diag_type_0ELS1_1E21rocsparse_complex_numIdEiiEEvT4_PKT3_PKS4_PKT2_21rocsparse_index_base_S7_PS4_PSA_SD_S7_SE_SF_SD_SF_.num_vgpr, 14
	.set _ZN9rocsparseL19csxsldu_fill_kernelILj1024EL20rocsparse_diag_type_0ELS1_1E21rocsparse_complex_numIdEiiEEvT4_PKT3_PKS4_PKT2_21rocsparse_index_base_S7_PS4_PSA_SD_S7_SE_SF_SD_SF_.num_agpr, 0
	.set _ZN9rocsparseL19csxsldu_fill_kernelILj1024EL20rocsparse_diag_type_0ELS1_1E21rocsparse_complex_numIdEiiEEvT4_PKT3_PKS4_PKT2_21rocsparse_index_base_S7_PS4_PSA_SD_S7_SE_SF_SD_SF_.numbered_sgpr, 23
	.set _ZN9rocsparseL19csxsldu_fill_kernelILj1024EL20rocsparse_diag_type_0ELS1_1E21rocsparse_complex_numIdEiiEEvT4_PKT3_PKS4_PKT2_21rocsparse_index_base_S7_PS4_PSA_SD_S7_SE_SF_SD_SF_.num_named_barrier, 0
	.set _ZN9rocsparseL19csxsldu_fill_kernelILj1024EL20rocsparse_diag_type_0ELS1_1E21rocsparse_complex_numIdEiiEEvT4_PKT3_PKS4_PKT2_21rocsparse_index_base_S7_PS4_PSA_SD_S7_SE_SF_SD_SF_.private_seg_size, 0
	.set _ZN9rocsparseL19csxsldu_fill_kernelILj1024EL20rocsparse_diag_type_0ELS1_1E21rocsparse_complex_numIdEiiEEvT4_PKT3_PKS4_PKT2_21rocsparse_index_base_S7_PS4_PSA_SD_S7_SE_SF_SD_SF_.uses_vcc, 1
	.set _ZN9rocsparseL19csxsldu_fill_kernelILj1024EL20rocsparse_diag_type_0ELS1_1E21rocsparse_complex_numIdEiiEEvT4_PKT3_PKS4_PKT2_21rocsparse_index_base_S7_PS4_PSA_SD_S7_SE_SF_SD_SF_.uses_flat_scratch, 0
	.set _ZN9rocsparseL19csxsldu_fill_kernelILj1024EL20rocsparse_diag_type_0ELS1_1E21rocsparse_complex_numIdEiiEEvT4_PKT3_PKS4_PKT2_21rocsparse_index_base_S7_PS4_PSA_SD_S7_SE_SF_SD_SF_.has_dyn_sized_stack, 0
	.set _ZN9rocsparseL19csxsldu_fill_kernelILj1024EL20rocsparse_diag_type_0ELS1_1E21rocsparse_complex_numIdEiiEEvT4_PKT3_PKS4_PKT2_21rocsparse_index_base_S7_PS4_PSA_SD_S7_SE_SF_SD_SF_.has_recursion, 0
	.set _ZN9rocsparseL19csxsldu_fill_kernelILj1024EL20rocsparse_diag_type_0ELS1_1E21rocsparse_complex_numIdEiiEEvT4_PKT3_PKS4_PKT2_21rocsparse_index_base_S7_PS4_PSA_SD_S7_SE_SF_SD_SF_.has_indirect_call, 0
	.section	.AMDGPU.csdata,"",@progbits
; Kernel info:
; codeLenInByte = 664
; TotalNumSgprs: 25
; NumVgprs: 14
; ScratchSize: 0
; MemoryBound: 0
; FloatMode: 240
; IeeeMode: 1
; LDSByteSize: 0 bytes/workgroup (compile time only)
; SGPRBlocks: 0
; VGPRBlocks: 0
; NumSGPRsForWavesPerEU: 25
; NumVGPRsForWavesPerEU: 14
; NamedBarCnt: 0
; Occupancy: 16
; WaveLimiterHint : 0
; COMPUTE_PGM_RSRC2:SCRATCH_EN: 0
; COMPUTE_PGM_RSRC2:USER_SGPR: 2
; COMPUTE_PGM_RSRC2:TRAP_HANDLER: 0
; COMPUTE_PGM_RSRC2:TGID_X_EN: 1
; COMPUTE_PGM_RSRC2:TGID_Y_EN: 0
; COMPUTE_PGM_RSRC2:TGID_Z_EN: 0
; COMPUTE_PGM_RSRC2:TIDIG_COMP_CNT: 0
	.section	.AMDGPU.gpr_maximums,"",@progbits
	.set amdgpu.max_num_vgpr, 0
	.set amdgpu.max_num_agpr, 0
	.set amdgpu.max_num_sgpr, 0
	.section	.AMDGPU.csdata,"",@progbits
	.type	__hip_cuid_d011cabcb8a202fc,@object ; @__hip_cuid_d011cabcb8a202fc
	.section	.bss,"aw",@nobits
	.globl	__hip_cuid_d011cabcb8a202fc
__hip_cuid_d011cabcb8a202fc:
	.byte	0                               ; 0x0
	.size	__hip_cuid_d011cabcb8a202fc, 1

	.ident	"AMD clang version 22.0.0git (https://github.com/RadeonOpenCompute/llvm-project roc-7.2.4 26084 f58b06dce1f9c15707c5f808fd002e18c2accf7e)"
	.section	".note.GNU-stack","",@progbits
	.addrsig
	.addrsig_sym __hip_cuid_d011cabcb8a202fc
	.amdgpu_metadata
---
amdhsa.kernels:
  - .args:
      - .offset:         0
        .size:           4
        .value_kind:     by_value
      - .address_space:  global
        .offset:         8
        .size:           8
        .value_kind:     global_buffer
      - .address_space:  global
        .offset:         16
        .size:           8
        .value_kind:     global_buffer
      - .address_space:  global
        .offset:         24
        .size:           8
        .value_kind:     global_buffer
      - .offset:         32
        .size:           4
        .value_kind:     by_value
      - .address_space:  global
        .offset:         40
        .size:           8
        .value_kind:     global_buffer
      - .address_space:  global
        .offset:         48
        .size:           8
        .value_kind:     global_buffer
      - .address_space:  global
        .offset:         56
        .size:           8
        .value_kind:     global_buffer
      - .offset:         64
        .size:           4
        .value_kind:     by_value
      - .address_space:  global
        .offset:         72
        .size:           8
        .value_kind:     global_buffer
      - .address_space:  global
        .offset:         80
        .size:           8
        .value_kind:     global_buffer
      - .address_space:  global
        .offset:         88
        .size:           8
        .value_kind:     global_buffer
      - .offset:         96
        .size:           4
        .value_kind:     by_value
      - .address_space:  global
        .offset:         104
        .size:           8
        .value_kind:     global_buffer
      - .offset:         112
        .size:           4
        .value_kind:     hidden_block_count_x
      - .offset:         116
        .size:           4
        .value_kind:     hidden_block_count_y
      - .offset:         120
        .size:           4
        .value_kind:     hidden_block_count_z
      - .offset:         124
        .size:           2
        .value_kind:     hidden_group_size_x
      - .offset:         126
        .size:           2
        .value_kind:     hidden_group_size_y
      - .offset:         128
        .size:           2
        .value_kind:     hidden_group_size_z
      - .offset:         130
        .size:           2
        .value_kind:     hidden_remainder_x
      - .offset:         132
        .size:           2
        .value_kind:     hidden_remainder_y
      - .offset:         134
        .size:           2
        .value_kind:     hidden_remainder_z
      - .offset:         152
        .size:           8
        .value_kind:     hidden_global_offset_x
      - .offset:         160
        .size:           8
        .value_kind:     hidden_global_offset_y
      - .offset:         168
        .size:           8
        .value_kind:     hidden_global_offset_z
      - .offset:         176
        .size:           2
        .value_kind:     hidden_grid_dims
    .group_segment_fixed_size: 0
    .kernarg_segment_align: 8
    .kernarg_segment_size: 368
    .language:       OpenCL C
    .language_version:
      - 2
      - 0
    .max_flat_workgroup_size: 1024
    .name:           _ZN9rocsparseL19csxsldu_fill_kernelILj1024EL20rocsparse_diag_type_1ELS1_0EiiiEEvT4_PKT3_PKS2_PKT2_21rocsparse_index_base_S5_PS2_PS8_SB_S5_SC_SD_SB_SD_
    .private_segment_fixed_size: 0
    .sgpr_count:     25
    .sgpr_spill_count: 0
    .symbol:         _ZN9rocsparseL19csxsldu_fill_kernelILj1024EL20rocsparse_diag_type_1ELS1_0EiiiEEvT4_PKT3_PKS2_PKT2_21rocsparse_index_base_S5_PS2_PS8_SB_S5_SC_SD_SB_SD_.kd
    .uniform_work_group_size: 1
    .uses_dynamic_stack: false
    .vgpr_count:     10
    .vgpr_spill_count: 0
    .wavefront_size: 32
  - .args:
      - .offset:         0
        .size:           4
        .value_kind:     by_value
      - .address_space:  global
        .offset:         8
        .size:           8
        .value_kind:     global_buffer
      - .address_space:  global
        .offset:         16
        .size:           8
        .value_kind:     global_buffer
      - .address_space:  global
        .offset:         24
        .size:           8
        .value_kind:     global_buffer
      - .offset:         32
        .size:           4
        .value_kind:     by_value
      - .address_space:  global
        .offset:         40
        .size:           8
        .value_kind:     global_buffer
      - .address_space:  global
        .offset:         48
        .size:           8
        .value_kind:     global_buffer
      - .address_space:  global
        .offset:         56
        .size:           8
        .value_kind:     global_buffer
      - .offset:         64
        .size:           4
        .value_kind:     by_value
      - .address_space:  global
        .offset:         72
        .size:           8
        .value_kind:     global_buffer
      - .address_space:  global
        .offset:         80
        .size:           8
        .value_kind:     global_buffer
      - .address_space:  global
        .offset:         88
        .size:           8
        .value_kind:     global_buffer
      - .offset:         96
        .size:           4
        .value_kind:     by_value
      - .address_space:  global
        .offset:         104
        .size:           8
        .value_kind:     global_buffer
      - .offset:         112
        .size:           4
        .value_kind:     hidden_block_count_x
      - .offset:         116
        .size:           4
        .value_kind:     hidden_block_count_y
      - .offset:         120
        .size:           4
        .value_kind:     hidden_block_count_z
      - .offset:         124
        .size:           2
        .value_kind:     hidden_group_size_x
      - .offset:         126
        .size:           2
        .value_kind:     hidden_group_size_y
      - .offset:         128
        .size:           2
        .value_kind:     hidden_group_size_z
      - .offset:         130
        .size:           2
        .value_kind:     hidden_remainder_x
      - .offset:         132
        .size:           2
        .value_kind:     hidden_remainder_y
      - .offset:         134
        .size:           2
        .value_kind:     hidden_remainder_z
      - .offset:         152
        .size:           8
        .value_kind:     hidden_global_offset_x
      - .offset:         160
        .size:           8
        .value_kind:     hidden_global_offset_y
      - .offset:         168
        .size:           8
        .value_kind:     hidden_global_offset_z
      - .offset:         176
        .size:           2
        .value_kind:     hidden_grid_dims
    .group_segment_fixed_size: 0
    .kernarg_segment_align: 8
    .kernarg_segment_size: 368
    .language:       OpenCL C
    .language_version:
      - 2
      - 0
    .max_flat_workgroup_size: 1024
    .name:           _ZN9rocsparseL19csxsldu_fill_kernelILj1024EL20rocsparse_diag_type_1ELS1_1EiiiEEvT4_PKT3_PKS2_PKT2_21rocsparse_index_base_S5_PS2_PS8_SB_S5_SC_SD_SB_SD_
    .private_segment_fixed_size: 0
    .sgpr_count:     25
    .sgpr_spill_count: 0
    .symbol:         _ZN9rocsparseL19csxsldu_fill_kernelILj1024EL20rocsparse_diag_type_1ELS1_1EiiiEEvT4_PKT3_PKS2_PKT2_21rocsparse_index_base_S5_PS2_PS8_SB_S5_SC_SD_SB_SD_.kd
    .uniform_work_group_size: 1
    .uses_dynamic_stack: false
    .vgpr_count:     15
    .vgpr_spill_count: 0
    .wavefront_size: 32
  - .args:
      - .offset:         0
        .size:           4
        .value_kind:     by_value
      - .address_space:  global
        .offset:         8
        .size:           8
        .value_kind:     global_buffer
      - .address_space:  global
        .offset:         16
        .size:           8
        .value_kind:     global_buffer
      - .address_space:  global
        .offset:         24
        .size:           8
        .value_kind:     global_buffer
      - .offset:         32
        .size:           4
        .value_kind:     by_value
      - .address_space:  global
        .offset:         40
        .size:           8
        .value_kind:     global_buffer
      - .address_space:  global
        .offset:         48
        .size:           8
        .value_kind:     global_buffer
      - .address_space:  global
        .offset:         56
        .size:           8
        .value_kind:     global_buffer
      - .offset:         64
        .size:           4
        .value_kind:     by_value
      - .address_space:  global
        .offset:         72
        .size:           8
        .value_kind:     global_buffer
      - .address_space:  global
        .offset:         80
        .size:           8
        .value_kind:     global_buffer
      - .address_space:  global
        .offset:         88
        .size:           8
        .value_kind:     global_buffer
      - .offset:         96
        .size:           4
        .value_kind:     by_value
      - .address_space:  global
        .offset:         104
        .size:           8
        .value_kind:     global_buffer
      - .offset:         112
        .size:           4
        .value_kind:     hidden_block_count_x
      - .offset:         116
        .size:           4
        .value_kind:     hidden_block_count_y
      - .offset:         120
        .size:           4
        .value_kind:     hidden_block_count_z
      - .offset:         124
        .size:           2
        .value_kind:     hidden_group_size_x
      - .offset:         126
        .size:           2
        .value_kind:     hidden_group_size_y
      - .offset:         128
        .size:           2
        .value_kind:     hidden_group_size_z
      - .offset:         130
        .size:           2
        .value_kind:     hidden_remainder_x
      - .offset:         132
        .size:           2
        .value_kind:     hidden_remainder_y
      - .offset:         134
        .size:           2
        .value_kind:     hidden_remainder_z
      - .offset:         152
        .size:           8
        .value_kind:     hidden_global_offset_x
      - .offset:         160
        .size:           8
        .value_kind:     hidden_global_offset_y
      - .offset:         168
        .size:           8
        .value_kind:     hidden_global_offset_z
      - .offset:         176
        .size:           2
        .value_kind:     hidden_grid_dims
    .group_segment_fixed_size: 0
    .kernarg_segment_align: 8
    .kernarg_segment_size: 368
    .language:       OpenCL C
    .language_version:
      - 2
      - 0
    .max_flat_workgroup_size: 1024
    .name:           _ZN9rocsparseL19csxsldu_fill_kernelILj1024EL20rocsparse_diag_type_0ELS1_1EiiiEEvT4_PKT3_PKS2_PKT2_21rocsparse_index_base_S5_PS2_PS8_SB_S5_SC_SD_SB_SD_
    .private_segment_fixed_size: 0
    .sgpr_count:     25
    .sgpr_spill_count: 0
    .symbol:         _ZN9rocsparseL19csxsldu_fill_kernelILj1024EL20rocsparse_diag_type_0ELS1_1EiiiEEvT4_PKT3_PKS2_PKT2_21rocsparse_index_base_S5_PS2_PS8_SB_S5_SC_SD_SB_SD_.kd
    .uniform_work_group_size: 1
    .uses_dynamic_stack: false
    .vgpr_count:     10
    .vgpr_spill_count: 0
    .wavefront_size: 32
  - .args:
      - .offset:         0
        .size:           4
        .value_kind:     by_value
      - .address_space:  global
        .offset:         8
        .size:           8
        .value_kind:     global_buffer
      - .address_space:  global
        .offset:         16
        .size:           8
        .value_kind:     global_buffer
      - .address_space:  global
        .offset:         24
        .size:           8
        .value_kind:     global_buffer
      - .offset:         32
        .size:           4
        .value_kind:     by_value
      - .address_space:  global
        .offset:         40
        .size:           8
        .value_kind:     global_buffer
      - .address_space:  global
        .offset:         48
        .size:           8
        .value_kind:     global_buffer
      - .address_space:  global
        .offset:         56
        .size:           8
        .value_kind:     global_buffer
      - .offset:         64
        .size:           4
        .value_kind:     by_value
      - .address_space:  global
        .offset:         72
        .size:           8
        .value_kind:     global_buffer
      - .address_space:  global
        .offset:         80
        .size:           8
        .value_kind:     global_buffer
      - .address_space:  global
        .offset:         88
        .size:           8
        .value_kind:     global_buffer
      - .offset:         96
        .size:           4
        .value_kind:     by_value
      - .address_space:  global
        .offset:         104
        .size:           8
        .value_kind:     global_buffer
      - .offset:         112
        .size:           4
        .value_kind:     hidden_block_count_x
      - .offset:         116
        .size:           4
        .value_kind:     hidden_block_count_y
      - .offset:         120
        .size:           4
        .value_kind:     hidden_block_count_z
      - .offset:         124
        .size:           2
        .value_kind:     hidden_group_size_x
      - .offset:         126
        .size:           2
        .value_kind:     hidden_group_size_y
      - .offset:         128
        .size:           2
        .value_kind:     hidden_group_size_z
      - .offset:         130
        .size:           2
        .value_kind:     hidden_remainder_x
      - .offset:         132
        .size:           2
        .value_kind:     hidden_remainder_y
      - .offset:         134
        .size:           2
        .value_kind:     hidden_remainder_z
      - .offset:         152
        .size:           8
        .value_kind:     hidden_global_offset_x
      - .offset:         160
        .size:           8
        .value_kind:     hidden_global_offset_y
      - .offset:         168
        .size:           8
        .value_kind:     hidden_global_offset_z
      - .offset:         176
        .size:           2
        .value_kind:     hidden_grid_dims
    .group_segment_fixed_size: 0
    .kernarg_segment_align: 8
    .kernarg_segment_size: 368
    .language:       OpenCL C
    .language_version:
      - 2
      - 0
    .max_flat_workgroup_size: 1024
    .name:           _ZN9rocsparseL19csxsldu_fill_kernelILj1024EL20rocsparse_diag_type_1ELS1_0EfiiEEvT4_PKT3_PKS2_PKT2_21rocsparse_index_base_S5_PS2_PS8_SB_S5_SC_SD_SB_SD_
    .private_segment_fixed_size: 0
    .sgpr_count:     25
    .sgpr_spill_count: 0
    .symbol:         _ZN9rocsparseL19csxsldu_fill_kernelILj1024EL20rocsparse_diag_type_1ELS1_0EfiiEEvT4_PKT3_PKS2_PKT2_21rocsparse_index_base_S5_PS2_PS8_SB_S5_SC_SD_SB_SD_.kd
    .uniform_work_group_size: 1
    .uses_dynamic_stack: false
    .vgpr_count:     11
    .vgpr_spill_count: 0
    .wavefront_size: 32
  - .args:
      - .offset:         0
        .size:           4
        .value_kind:     by_value
      - .address_space:  global
        .offset:         8
        .size:           8
        .value_kind:     global_buffer
      - .address_space:  global
        .offset:         16
        .size:           8
        .value_kind:     global_buffer
      - .address_space:  global
        .offset:         24
        .size:           8
        .value_kind:     global_buffer
      - .offset:         32
        .size:           4
        .value_kind:     by_value
      - .address_space:  global
        .offset:         40
        .size:           8
        .value_kind:     global_buffer
      - .address_space:  global
        .offset:         48
        .size:           8
        .value_kind:     global_buffer
      - .address_space:  global
        .offset:         56
        .size:           8
        .value_kind:     global_buffer
      - .offset:         64
        .size:           4
        .value_kind:     by_value
      - .address_space:  global
        .offset:         72
        .size:           8
        .value_kind:     global_buffer
      - .address_space:  global
        .offset:         80
        .size:           8
        .value_kind:     global_buffer
      - .address_space:  global
        .offset:         88
        .size:           8
        .value_kind:     global_buffer
      - .offset:         96
        .size:           4
        .value_kind:     by_value
      - .address_space:  global
        .offset:         104
        .size:           8
        .value_kind:     global_buffer
      - .offset:         112
        .size:           4
        .value_kind:     hidden_block_count_x
      - .offset:         116
        .size:           4
        .value_kind:     hidden_block_count_y
      - .offset:         120
        .size:           4
        .value_kind:     hidden_block_count_z
      - .offset:         124
        .size:           2
        .value_kind:     hidden_group_size_x
      - .offset:         126
        .size:           2
        .value_kind:     hidden_group_size_y
      - .offset:         128
        .size:           2
        .value_kind:     hidden_group_size_z
      - .offset:         130
        .size:           2
        .value_kind:     hidden_remainder_x
      - .offset:         132
        .size:           2
        .value_kind:     hidden_remainder_y
      - .offset:         134
        .size:           2
        .value_kind:     hidden_remainder_z
      - .offset:         152
        .size:           8
        .value_kind:     hidden_global_offset_x
      - .offset:         160
        .size:           8
        .value_kind:     hidden_global_offset_y
      - .offset:         168
        .size:           8
        .value_kind:     hidden_global_offset_z
      - .offset:         176
        .size:           2
        .value_kind:     hidden_grid_dims
    .group_segment_fixed_size: 0
    .kernarg_segment_align: 8
    .kernarg_segment_size: 368
    .language:       OpenCL C
    .language_version:
      - 2
      - 0
    .max_flat_workgroup_size: 1024
    .name:           _ZN9rocsparseL19csxsldu_fill_kernelILj1024EL20rocsparse_diag_type_1ELS1_1EfiiEEvT4_PKT3_PKS2_PKT2_21rocsparse_index_base_S5_PS2_PS8_SB_S5_SC_SD_SB_SD_
    .private_segment_fixed_size: 0
    .sgpr_count:     25
    .sgpr_spill_count: 0
    .symbol:         _ZN9rocsparseL19csxsldu_fill_kernelILj1024EL20rocsparse_diag_type_1ELS1_1EfiiEEvT4_PKT3_PKS2_PKT2_21rocsparse_index_base_S5_PS2_PS8_SB_S5_SC_SD_SB_SD_.kd
    .uniform_work_group_size: 1
    .uses_dynamic_stack: false
    .vgpr_count:     16
    .vgpr_spill_count: 0
    .wavefront_size: 32
  - .args:
      - .offset:         0
        .size:           4
        .value_kind:     by_value
      - .address_space:  global
        .offset:         8
        .size:           8
        .value_kind:     global_buffer
      - .address_space:  global
        .offset:         16
        .size:           8
        .value_kind:     global_buffer
      - .address_space:  global
        .offset:         24
        .size:           8
        .value_kind:     global_buffer
      - .offset:         32
        .size:           4
        .value_kind:     by_value
      - .address_space:  global
        .offset:         40
        .size:           8
        .value_kind:     global_buffer
      - .address_space:  global
        .offset:         48
        .size:           8
        .value_kind:     global_buffer
      - .address_space:  global
        .offset:         56
        .size:           8
        .value_kind:     global_buffer
      - .offset:         64
        .size:           4
        .value_kind:     by_value
      - .address_space:  global
        .offset:         72
        .size:           8
        .value_kind:     global_buffer
      - .address_space:  global
        .offset:         80
        .size:           8
        .value_kind:     global_buffer
      - .address_space:  global
        .offset:         88
        .size:           8
        .value_kind:     global_buffer
      - .offset:         96
        .size:           4
        .value_kind:     by_value
      - .address_space:  global
        .offset:         104
        .size:           8
        .value_kind:     global_buffer
      - .offset:         112
        .size:           4
        .value_kind:     hidden_block_count_x
      - .offset:         116
        .size:           4
        .value_kind:     hidden_block_count_y
      - .offset:         120
        .size:           4
        .value_kind:     hidden_block_count_z
      - .offset:         124
        .size:           2
        .value_kind:     hidden_group_size_x
      - .offset:         126
        .size:           2
        .value_kind:     hidden_group_size_y
      - .offset:         128
        .size:           2
        .value_kind:     hidden_group_size_z
      - .offset:         130
        .size:           2
        .value_kind:     hidden_remainder_x
      - .offset:         132
        .size:           2
        .value_kind:     hidden_remainder_y
      - .offset:         134
        .size:           2
        .value_kind:     hidden_remainder_z
      - .offset:         152
        .size:           8
        .value_kind:     hidden_global_offset_x
      - .offset:         160
        .size:           8
        .value_kind:     hidden_global_offset_y
      - .offset:         168
        .size:           8
        .value_kind:     hidden_global_offset_z
      - .offset:         176
        .size:           2
        .value_kind:     hidden_grid_dims
    .group_segment_fixed_size: 0
    .kernarg_segment_align: 8
    .kernarg_segment_size: 368
    .language:       OpenCL C
    .language_version:
      - 2
      - 0
    .max_flat_workgroup_size: 1024
    .name:           _ZN9rocsparseL19csxsldu_fill_kernelILj1024EL20rocsparse_diag_type_0ELS1_1EfiiEEvT4_PKT3_PKS2_PKT2_21rocsparse_index_base_S5_PS2_PS8_SB_S5_SC_SD_SB_SD_
    .private_segment_fixed_size: 0
    .sgpr_count:     25
    .sgpr_spill_count: 0
    .symbol:         _ZN9rocsparseL19csxsldu_fill_kernelILj1024EL20rocsparse_diag_type_0ELS1_1EfiiEEvT4_PKT3_PKS2_PKT2_21rocsparse_index_base_S5_PS2_PS8_SB_S5_SC_SD_SB_SD_.kd
    .uniform_work_group_size: 1
    .uses_dynamic_stack: false
    .vgpr_count:     11
    .vgpr_spill_count: 0
    .wavefront_size: 32
  - .args:
      - .offset:         0
        .size:           4
        .value_kind:     by_value
      - .address_space:  global
        .offset:         8
        .size:           8
        .value_kind:     global_buffer
      - .address_space:  global
        .offset:         16
        .size:           8
        .value_kind:     global_buffer
      - .address_space:  global
        .offset:         24
        .size:           8
        .value_kind:     global_buffer
      - .offset:         32
        .size:           4
        .value_kind:     by_value
      - .address_space:  global
        .offset:         40
        .size:           8
        .value_kind:     global_buffer
      - .address_space:  global
        .offset:         48
        .size:           8
        .value_kind:     global_buffer
      - .address_space:  global
        .offset:         56
        .size:           8
        .value_kind:     global_buffer
      - .offset:         64
        .size:           4
        .value_kind:     by_value
      - .address_space:  global
        .offset:         72
        .size:           8
        .value_kind:     global_buffer
      - .address_space:  global
        .offset:         80
        .size:           8
        .value_kind:     global_buffer
      - .address_space:  global
        .offset:         88
        .size:           8
        .value_kind:     global_buffer
      - .offset:         96
        .size:           4
        .value_kind:     by_value
      - .address_space:  global
        .offset:         104
        .size:           8
        .value_kind:     global_buffer
      - .offset:         112
        .size:           4
        .value_kind:     hidden_block_count_x
      - .offset:         116
        .size:           4
        .value_kind:     hidden_block_count_y
      - .offset:         120
        .size:           4
        .value_kind:     hidden_block_count_z
      - .offset:         124
        .size:           2
        .value_kind:     hidden_group_size_x
      - .offset:         126
        .size:           2
        .value_kind:     hidden_group_size_y
      - .offset:         128
        .size:           2
        .value_kind:     hidden_group_size_z
      - .offset:         130
        .size:           2
        .value_kind:     hidden_remainder_x
      - .offset:         132
        .size:           2
        .value_kind:     hidden_remainder_y
      - .offset:         134
        .size:           2
        .value_kind:     hidden_remainder_z
      - .offset:         152
        .size:           8
        .value_kind:     hidden_global_offset_x
      - .offset:         160
        .size:           8
        .value_kind:     hidden_global_offset_y
      - .offset:         168
        .size:           8
        .value_kind:     hidden_global_offset_z
      - .offset:         176
        .size:           2
        .value_kind:     hidden_grid_dims
    .group_segment_fixed_size: 0
    .kernarg_segment_align: 8
    .kernarg_segment_size: 368
    .language:       OpenCL C
    .language_version:
      - 2
      - 0
    .max_flat_workgroup_size: 1024
    .name:           _ZN9rocsparseL19csxsldu_fill_kernelILj1024EL20rocsparse_diag_type_1ELS1_0EdiiEEvT4_PKT3_PKS2_PKT2_21rocsparse_index_base_S5_PS2_PS8_SB_S5_SC_SD_SB_SD_
    .private_segment_fixed_size: 0
    .sgpr_count:     25
    .sgpr_spill_count: 0
    .symbol:         _ZN9rocsparseL19csxsldu_fill_kernelILj1024EL20rocsparse_diag_type_1ELS1_0EdiiEEvT4_PKT3_PKS2_PKT2_21rocsparse_index_base_S5_PS2_PS8_SB_S5_SC_SD_SB_SD_.kd
    .uniform_work_group_size: 1
    .uses_dynamic_stack: false
    .vgpr_count:     12
    .vgpr_spill_count: 0
    .wavefront_size: 32
  - .args:
      - .offset:         0
        .size:           4
        .value_kind:     by_value
      - .address_space:  global
        .offset:         8
        .size:           8
        .value_kind:     global_buffer
      - .address_space:  global
        .offset:         16
        .size:           8
        .value_kind:     global_buffer
      - .address_space:  global
        .offset:         24
        .size:           8
        .value_kind:     global_buffer
      - .offset:         32
        .size:           4
        .value_kind:     by_value
      - .address_space:  global
        .offset:         40
        .size:           8
        .value_kind:     global_buffer
      - .address_space:  global
        .offset:         48
        .size:           8
        .value_kind:     global_buffer
      - .address_space:  global
        .offset:         56
        .size:           8
        .value_kind:     global_buffer
      - .offset:         64
        .size:           4
        .value_kind:     by_value
      - .address_space:  global
        .offset:         72
        .size:           8
        .value_kind:     global_buffer
      - .address_space:  global
        .offset:         80
        .size:           8
        .value_kind:     global_buffer
      - .address_space:  global
        .offset:         88
        .size:           8
        .value_kind:     global_buffer
      - .offset:         96
        .size:           4
        .value_kind:     by_value
      - .address_space:  global
        .offset:         104
        .size:           8
        .value_kind:     global_buffer
      - .offset:         112
        .size:           4
        .value_kind:     hidden_block_count_x
      - .offset:         116
        .size:           4
        .value_kind:     hidden_block_count_y
      - .offset:         120
        .size:           4
        .value_kind:     hidden_block_count_z
      - .offset:         124
        .size:           2
        .value_kind:     hidden_group_size_x
      - .offset:         126
        .size:           2
        .value_kind:     hidden_group_size_y
      - .offset:         128
        .size:           2
        .value_kind:     hidden_group_size_z
      - .offset:         130
        .size:           2
        .value_kind:     hidden_remainder_x
      - .offset:         132
        .size:           2
        .value_kind:     hidden_remainder_y
      - .offset:         134
        .size:           2
        .value_kind:     hidden_remainder_z
      - .offset:         152
        .size:           8
        .value_kind:     hidden_global_offset_x
      - .offset:         160
        .size:           8
        .value_kind:     hidden_global_offset_y
      - .offset:         168
        .size:           8
        .value_kind:     hidden_global_offset_z
      - .offset:         176
        .size:           2
        .value_kind:     hidden_grid_dims
    .group_segment_fixed_size: 0
    .kernarg_segment_align: 8
    .kernarg_segment_size: 368
    .language:       OpenCL C
    .language_version:
      - 2
      - 0
    .max_flat_workgroup_size: 1024
    .name:           _ZN9rocsparseL19csxsldu_fill_kernelILj1024EL20rocsparse_diag_type_1ELS1_1EdiiEEvT4_PKT3_PKS2_PKT2_21rocsparse_index_base_S5_PS2_PS8_SB_S5_SC_SD_SB_SD_
    .private_segment_fixed_size: 0
    .sgpr_count:     25
    .sgpr_spill_count: 0
    .symbol:         _ZN9rocsparseL19csxsldu_fill_kernelILj1024EL20rocsparse_diag_type_1ELS1_1EdiiEEvT4_PKT3_PKS2_PKT2_21rocsparse_index_base_S5_PS2_PS8_SB_S5_SC_SD_SB_SD_.kd
    .uniform_work_group_size: 1
    .uses_dynamic_stack: false
    .vgpr_count:     17
    .vgpr_spill_count: 0
    .wavefront_size: 32
  - .args:
      - .offset:         0
        .size:           4
        .value_kind:     by_value
      - .address_space:  global
        .offset:         8
        .size:           8
        .value_kind:     global_buffer
      - .address_space:  global
        .offset:         16
        .size:           8
        .value_kind:     global_buffer
      - .address_space:  global
        .offset:         24
        .size:           8
        .value_kind:     global_buffer
      - .offset:         32
        .size:           4
        .value_kind:     by_value
      - .address_space:  global
        .offset:         40
        .size:           8
        .value_kind:     global_buffer
      - .address_space:  global
        .offset:         48
        .size:           8
        .value_kind:     global_buffer
      - .address_space:  global
        .offset:         56
        .size:           8
        .value_kind:     global_buffer
      - .offset:         64
        .size:           4
        .value_kind:     by_value
      - .address_space:  global
        .offset:         72
        .size:           8
        .value_kind:     global_buffer
      - .address_space:  global
        .offset:         80
        .size:           8
        .value_kind:     global_buffer
      - .address_space:  global
        .offset:         88
        .size:           8
        .value_kind:     global_buffer
      - .offset:         96
        .size:           4
        .value_kind:     by_value
      - .address_space:  global
        .offset:         104
        .size:           8
        .value_kind:     global_buffer
      - .offset:         112
        .size:           4
        .value_kind:     hidden_block_count_x
      - .offset:         116
        .size:           4
        .value_kind:     hidden_block_count_y
      - .offset:         120
        .size:           4
        .value_kind:     hidden_block_count_z
      - .offset:         124
        .size:           2
        .value_kind:     hidden_group_size_x
      - .offset:         126
        .size:           2
        .value_kind:     hidden_group_size_y
      - .offset:         128
        .size:           2
        .value_kind:     hidden_group_size_z
      - .offset:         130
        .size:           2
        .value_kind:     hidden_remainder_x
      - .offset:         132
        .size:           2
        .value_kind:     hidden_remainder_y
      - .offset:         134
        .size:           2
        .value_kind:     hidden_remainder_z
      - .offset:         152
        .size:           8
        .value_kind:     hidden_global_offset_x
      - .offset:         160
        .size:           8
        .value_kind:     hidden_global_offset_y
      - .offset:         168
        .size:           8
        .value_kind:     hidden_global_offset_z
      - .offset:         176
        .size:           2
        .value_kind:     hidden_grid_dims
    .group_segment_fixed_size: 0
    .kernarg_segment_align: 8
    .kernarg_segment_size: 368
    .language:       OpenCL C
    .language_version:
      - 2
      - 0
    .max_flat_workgroup_size: 1024
    .name:           _ZN9rocsparseL19csxsldu_fill_kernelILj1024EL20rocsparse_diag_type_0ELS1_1EdiiEEvT4_PKT3_PKS2_PKT2_21rocsparse_index_base_S5_PS2_PS8_SB_S5_SC_SD_SB_SD_
    .private_segment_fixed_size: 0
    .sgpr_count:     25
    .sgpr_spill_count: 0
    .symbol:         _ZN9rocsparseL19csxsldu_fill_kernelILj1024EL20rocsparse_diag_type_0ELS1_1EdiiEEvT4_PKT3_PKS2_PKT2_21rocsparse_index_base_S5_PS2_PS8_SB_S5_SC_SD_SB_SD_.kd
    .uniform_work_group_size: 1
    .uses_dynamic_stack: false
    .vgpr_count:     12
    .vgpr_spill_count: 0
    .wavefront_size: 32
  - .args:
      - .offset:         0
        .size:           4
        .value_kind:     by_value
      - .address_space:  global
        .offset:         8
        .size:           8
        .value_kind:     global_buffer
      - .address_space:  global
        .offset:         16
        .size:           8
        .value_kind:     global_buffer
      - .address_space:  global
        .offset:         24
        .size:           8
        .value_kind:     global_buffer
      - .offset:         32
        .size:           4
        .value_kind:     by_value
      - .address_space:  global
        .offset:         40
        .size:           8
        .value_kind:     global_buffer
      - .address_space:  global
        .offset:         48
        .size:           8
        .value_kind:     global_buffer
      - .address_space:  global
        .offset:         56
        .size:           8
        .value_kind:     global_buffer
      - .offset:         64
        .size:           4
        .value_kind:     by_value
      - .address_space:  global
        .offset:         72
        .size:           8
        .value_kind:     global_buffer
      - .address_space:  global
        .offset:         80
        .size:           8
        .value_kind:     global_buffer
      - .address_space:  global
        .offset:         88
        .size:           8
        .value_kind:     global_buffer
      - .offset:         96
        .size:           4
        .value_kind:     by_value
      - .address_space:  global
        .offset:         104
        .size:           8
        .value_kind:     global_buffer
      - .offset:         112
        .size:           4
        .value_kind:     hidden_block_count_x
      - .offset:         116
        .size:           4
        .value_kind:     hidden_block_count_y
      - .offset:         120
        .size:           4
        .value_kind:     hidden_block_count_z
      - .offset:         124
        .size:           2
        .value_kind:     hidden_group_size_x
      - .offset:         126
        .size:           2
        .value_kind:     hidden_group_size_y
      - .offset:         128
        .size:           2
        .value_kind:     hidden_group_size_z
      - .offset:         130
        .size:           2
        .value_kind:     hidden_remainder_x
      - .offset:         132
        .size:           2
        .value_kind:     hidden_remainder_y
      - .offset:         134
        .size:           2
        .value_kind:     hidden_remainder_z
      - .offset:         152
        .size:           8
        .value_kind:     hidden_global_offset_x
      - .offset:         160
        .size:           8
        .value_kind:     hidden_global_offset_y
      - .offset:         168
        .size:           8
        .value_kind:     hidden_global_offset_z
      - .offset:         176
        .size:           2
        .value_kind:     hidden_grid_dims
    .group_segment_fixed_size: 0
    .kernarg_segment_align: 8
    .kernarg_segment_size: 368
    .language:       OpenCL C
    .language_version:
      - 2
      - 0
    .max_flat_workgroup_size: 1024
    .name:           _ZN9rocsparseL19csxsldu_fill_kernelILj1024EL20rocsparse_diag_type_1ELS1_0E21rocsparse_complex_numIfEiiEEvT4_PKT3_PKS4_PKT2_21rocsparse_index_base_S7_PS4_PSA_SD_S7_SE_SF_SD_SF_
    .private_segment_fixed_size: 0
    .sgpr_count:     25
    .sgpr_spill_count: 0
    .symbol:         _ZN9rocsparseL19csxsldu_fill_kernelILj1024EL20rocsparse_diag_type_1ELS1_0E21rocsparse_complex_numIfEiiEEvT4_PKT3_PKS4_PKT2_21rocsparse_index_base_S7_PS4_PSA_SD_S7_SE_SF_SD_SF_.kd
    .uniform_work_group_size: 1
    .uses_dynamic_stack: false
    .vgpr_count:     12
    .vgpr_spill_count: 0
    .wavefront_size: 32
  - .args:
      - .offset:         0
        .size:           4
        .value_kind:     by_value
      - .address_space:  global
        .offset:         8
        .size:           8
        .value_kind:     global_buffer
      - .address_space:  global
        .offset:         16
        .size:           8
        .value_kind:     global_buffer
      - .address_space:  global
        .offset:         24
        .size:           8
        .value_kind:     global_buffer
      - .offset:         32
        .size:           4
        .value_kind:     by_value
      - .address_space:  global
        .offset:         40
        .size:           8
        .value_kind:     global_buffer
      - .address_space:  global
        .offset:         48
        .size:           8
        .value_kind:     global_buffer
      - .address_space:  global
        .offset:         56
        .size:           8
        .value_kind:     global_buffer
      - .offset:         64
        .size:           4
        .value_kind:     by_value
      - .address_space:  global
        .offset:         72
        .size:           8
        .value_kind:     global_buffer
      - .address_space:  global
        .offset:         80
        .size:           8
        .value_kind:     global_buffer
      - .address_space:  global
        .offset:         88
        .size:           8
        .value_kind:     global_buffer
      - .offset:         96
        .size:           4
        .value_kind:     by_value
      - .address_space:  global
        .offset:         104
        .size:           8
        .value_kind:     global_buffer
      - .offset:         112
        .size:           4
        .value_kind:     hidden_block_count_x
      - .offset:         116
        .size:           4
        .value_kind:     hidden_block_count_y
      - .offset:         120
        .size:           4
        .value_kind:     hidden_block_count_z
      - .offset:         124
        .size:           2
        .value_kind:     hidden_group_size_x
      - .offset:         126
        .size:           2
        .value_kind:     hidden_group_size_y
      - .offset:         128
        .size:           2
        .value_kind:     hidden_group_size_z
      - .offset:         130
        .size:           2
        .value_kind:     hidden_remainder_x
      - .offset:         132
        .size:           2
        .value_kind:     hidden_remainder_y
      - .offset:         134
        .size:           2
        .value_kind:     hidden_remainder_z
      - .offset:         152
        .size:           8
        .value_kind:     hidden_global_offset_x
      - .offset:         160
        .size:           8
        .value_kind:     hidden_global_offset_y
      - .offset:         168
        .size:           8
        .value_kind:     hidden_global_offset_z
      - .offset:         176
        .size:           2
        .value_kind:     hidden_grid_dims
    .group_segment_fixed_size: 0
    .kernarg_segment_align: 8
    .kernarg_segment_size: 368
    .language:       OpenCL C
    .language_version:
      - 2
      - 0
    .max_flat_workgroup_size: 1024
    .name:           _ZN9rocsparseL19csxsldu_fill_kernelILj1024EL20rocsparse_diag_type_1ELS1_1E21rocsparse_complex_numIfEiiEEvT4_PKT3_PKS4_PKT2_21rocsparse_index_base_S7_PS4_PSA_SD_S7_SE_SF_SD_SF_
    .private_segment_fixed_size: 0
    .sgpr_count:     25
    .sgpr_spill_count: 0
    .symbol:         _ZN9rocsparseL19csxsldu_fill_kernelILj1024EL20rocsparse_diag_type_1ELS1_1E21rocsparse_complex_numIfEiiEEvT4_PKT3_PKS4_PKT2_21rocsparse_index_base_S7_PS4_PSA_SD_S7_SE_SF_SD_SF_.kd
    .uniform_work_group_size: 1
    .uses_dynamic_stack: false
    .vgpr_count:     16
    .vgpr_spill_count: 0
    .wavefront_size: 32
  - .args:
      - .offset:         0
        .size:           4
        .value_kind:     by_value
      - .address_space:  global
        .offset:         8
        .size:           8
        .value_kind:     global_buffer
      - .address_space:  global
        .offset:         16
        .size:           8
        .value_kind:     global_buffer
      - .address_space:  global
        .offset:         24
        .size:           8
        .value_kind:     global_buffer
      - .offset:         32
        .size:           4
        .value_kind:     by_value
      - .address_space:  global
        .offset:         40
        .size:           8
        .value_kind:     global_buffer
      - .address_space:  global
        .offset:         48
        .size:           8
        .value_kind:     global_buffer
      - .address_space:  global
        .offset:         56
        .size:           8
        .value_kind:     global_buffer
      - .offset:         64
        .size:           4
        .value_kind:     by_value
      - .address_space:  global
        .offset:         72
        .size:           8
        .value_kind:     global_buffer
      - .address_space:  global
        .offset:         80
        .size:           8
        .value_kind:     global_buffer
      - .address_space:  global
        .offset:         88
        .size:           8
        .value_kind:     global_buffer
      - .offset:         96
        .size:           4
        .value_kind:     by_value
      - .address_space:  global
        .offset:         104
        .size:           8
        .value_kind:     global_buffer
      - .offset:         112
        .size:           4
        .value_kind:     hidden_block_count_x
      - .offset:         116
        .size:           4
        .value_kind:     hidden_block_count_y
      - .offset:         120
        .size:           4
        .value_kind:     hidden_block_count_z
      - .offset:         124
        .size:           2
        .value_kind:     hidden_group_size_x
      - .offset:         126
        .size:           2
        .value_kind:     hidden_group_size_y
      - .offset:         128
        .size:           2
        .value_kind:     hidden_group_size_z
      - .offset:         130
        .size:           2
        .value_kind:     hidden_remainder_x
      - .offset:         132
        .size:           2
        .value_kind:     hidden_remainder_y
      - .offset:         134
        .size:           2
        .value_kind:     hidden_remainder_z
      - .offset:         152
        .size:           8
        .value_kind:     hidden_global_offset_x
      - .offset:         160
        .size:           8
        .value_kind:     hidden_global_offset_y
      - .offset:         168
        .size:           8
        .value_kind:     hidden_global_offset_z
      - .offset:         176
        .size:           2
        .value_kind:     hidden_grid_dims
    .group_segment_fixed_size: 0
    .kernarg_segment_align: 8
    .kernarg_segment_size: 368
    .language:       OpenCL C
    .language_version:
      - 2
      - 0
    .max_flat_workgroup_size: 1024
    .name:           _ZN9rocsparseL19csxsldu_fill_kernelILj1024EL20rocsparse_diag_type_0ELS1_1E21rocsparse_complex_numIfEiiEEvT4_PKT3_PKS4_PKT2_21rocsparse_index_base_S7_PS4_PSA_SD_S7_SE_SF_SD_SF_
    .private_segment_fixed_size: 0
    .sgpr_count:     25
    .sgpr_spill_count: 0
    .symbol:         _ZN9rocsparseL19csxsldu_fill_kernelILj1024EL20rocsparse_diag_type_0ELS1_1E21rocsparse_complex_numIfEiiEEvT4_PKT3_PKS4_PKT2_21rocsparse_index_base_S7_PS4_PSA_SD_S7_SE_SF_SD_SF_.kd
    .uniform_work_group_size: 1
    .uses_dynamic_stack: false
    .vgpr_count:     12
    .vgpr_spill_count: 0
    .wavefront_size: 32
  - .args:
      - .offset:         0
        .size:           4
        .value_kind:     by_value
      - .address_space:  global
        .offset:         8
        .size:           8
        .value_kind:     global_buffer
      - .address_space:  global
        .offset:         16
        .size:           8
        .value_kind:     global_buffer
      - .address_space:  global
        .offset:         24
        .size:           8
        .value_kind:     global_buffer
      - .offset:         32
        .size:           4
        .value_kind:     by_value
      - .address_space:  global
        .offset:         40
        .size:           8
        .value_kind:     global_buffer
      - .address_space:  global
        .offset:         48
        .size:           8
        .value_kind:     global_buffer
      - .address_space:  global
        .offset:         56
        .size:           8
        .value_kind:     global_buffer
      - .offset:         64
        .size:           4
        .value_kind:     by_value
      - .address_space:  global
        .offset:         72
        .size:           8
        .value_kind:     global_buffer
      - .address_space:  global
        .offset:         80
        .size:           8
        .value_kind:     global_buffer
      - .address_space:  global
        .offset:         88
        .size:           8
        .value_kind:     global_buffer
      - .offset:         96
        .size:           4
        .value_kind:     by_value
      - .address_space:  global
        .offset:         104
        .size:           8
        .value_kind:     global_buffer
      - .offset:         112
        .size:           4
        .value_kind:     hidden_block_count_x
      - .offset:         116
        .size:           4
        .value_kind:     hidden_block_count_y
      - .offset:         120
        .size:           4
        .value_kind:     hidden_block_count_z
      - .offset:         124
        .size:           2
        .value_kind:     hidden_group_size_x
      - .offset:         126
        .size:           2
        .value_kind:     hidden_group_size_y
      - .offset:         128
        .size:           2
        .value_kind:     hidden_group_size_z
      - .offset:         130
        .size:           2
        .value_kind:     hidden_remainder_x
      - .offset:         132
        .size:           2
        .value_kind:     hidden_remainder_y
      - .offset:         134
        .size:           2
        .value_kind:     hidden_remainder_z
      - .offset:         152
        .size:           8
        .value_kind:     hidden_global_offset_x
      - .offset:         160
        .size:           8
        .value_kind:     hidden_global_offset_y
      - .offset:         168
        .size:           8
        .value_kind:     hidden_global_offset_z
      - .offset:         176
        .size:           2
        .value_kind:     hidden_grid_dims
    .group_segment_fixed_size: 0
    .kernarg_segment_align: 8
    .kernarg_segment_size: 368
    .language:       OpenCL C
    .language_version:
      - 2
      - 0
    .max_flat_workgroup_size: 1024
    .name:           _ZN9rocsparseL19csxsldu_fill_kernelILj1024EL20rocsparse_diag_type_1ELS1_0E21rocsparse_complex_numIdEiiEEvT4_PKT3_PKS4_PKT2_21rocsparse_index_base_S7_PS4_PSA_SD_S7_SE_SF_SD_SF_
    .private_segment_fixed_size: 0
    .sgpr_count:     25
    .sgpr_spill_count: 0
    .symbol:         _ZN9rocsparseL19csxsldu_fill_kernelILj1024EL20rocsparse_diag_type_1ELS1_0E21rocsparse_complex_numIdEiiEEvT4_PKT3_PKS4_PKT2_21rocsparse_index_base_S7_PS4_PSA_SD_S7_SE_SF_SD_SF_.kd
    .uniform_work_group_size: 1
    .uses_dynamic_stack: false
    .vgpr_count:     14
    .vgpr_spill_count: 0
    .wavefront_size: 32
  - .args:
      - .offset:         0
        .size:           4
        .value_kind:     by_value
      - .address_space:  global
        .offset:         8
        .size:           8
        .value_kind:     global_buffer
      - .address_space:  global
        .offset:         16
        .size:           8
        .value_kind:     global_buffer
      - .address_space:  global
        .offset:         24
        .size:           8
        .value_kind:     global_buffer
      - .offset:         32
        .size:           4
        .value_kind:     by_value
      - .address_space:  global
        .offset:         40
        .size:           8
        .value_kind:     global_buffer
      - .address_space:  global
        .offset:         48
        .size:           8
        .value_kind:     global_buffer
      - .address_space:  global
        .offset:         56
        .size:           8
        .value_kind:     global_buffer
      - .offset:         64
        .size:           4
        .value_kind:     by_value
      - .address_space:  global
        .offset:         72
        .size:           8
        .value_kind:     global_buffer
      - .address_space:  global
        .offset:         80
        .size:           8
        .value_kind:     global_buffer
      - .address_space:  global
        .offset:         88
        .size:           8
        .value_kind:     global_buffer
      - .offset:         96
        .size:           4
        .value_kind:     by_value
      - .address_space:  global
        .offset:         104
        .size:           8
        .value_kind:     global_buffer
      - .offset:         112
        .size:           4
        .value_kind:     hidden_block_count_x
      - .offset:         116
        .size:           4
        .value_kind:     hidden_block_count_y
      - .offset:         120
        .size:           4
        .value_kind:     hidden_block_count_z
      - .offset:         124
        .size:           2
        .value_kind:     hidden_group_size_x
      - .offset:         126
        .size:           2
        .value_kind:     hidden_group_size_y
      - .offset:         128
        .size:           2
        .value_kind:     hidden_group_size_z
      - .offset:         130
        .size:           2
        .value_kind:     hidden_remainder_x
      - .offset:         132
        .size:           2
        .value_kind:     hidden_remainder_y
      - .offset:         134
        .size:           2
        .value_kind:     hidden_remainder_z
      - .offset:         152
        .size:           8
        .value_kind:     hidden_global_offset_x
      - .offset:         160
        .size:           8
        .value_kind:     hidden_global_offset_y
      - .offset:         168
        .size:           8
        .value_kind:     hidden_global_offset_z
      - .offset:         176
        .size:           2
        .value_kind:     hidden_grid_dims
    .group_segment_fixed_size: 0
    .kernarg_segment_align: 8
    .kernarg_segment_size: 368
    .language:       OpenCL C
    .language_version:
      - 2
      - 0
    .max_flat_workgroup_size: 1024
    .name:           _ZN9rocsparseL19csxsldu_fill_kernelILj1024EL20rocsparse_diag_type_1ELS1_1E21rocsparse_complex_numIdEiiEEvT4_PKT3_PKS4_PKT2_21rocsparse_index_base_S7_PS4_PSA_SD_S7_SE_SF_SD_SF_
    .private_segment_fixed_size: 0
    .sgpr_count:     25
    .sgpr_spill_count: 0
    .symbol:         _ZN9rocsparseL19csxsldu_fill_kernelILj1024EL20rocsparse_diag_type_1ELS1_1E21rocsparse_complex_numIdEiiEEvT4_PKT3_PKS4_PKT2_21rocsparse_index_base_S7_PS4_PSA_SD_S7_SE_SF_SD_SF_.kd
    .uniform_work_group_size: 1
    .uses_dynamic_stack: false
    .vgpr_count:     18
    .vgpr_spill_count: 0
    .wavefront_size: 32
  - .args:
      - .offset:         0
        .size:           4
        .value_kind:     by_value
      - .address_space:  global
        .offset:         8
        .size:           8
        .value_kind:     global_buffer
      - .address_space:  global
        .offset:         16
        .size:           8
        .value_kind:     global_buffer
      - .address_space:  global
        .offset:         24
        .size:           8
        .value_kind:     global_buffer
      - .offset:         32
        .size:           4
        .value_kind:     by_value
      - .address_space:  global
        .offset:         40
        .size:           8
        .value_kind:     global_buffer
      - .address_space:  global
        .offset:         48
        .size:           8
        .value_kind:     global_buffer
      - .address_space:  global
        .offset:         56
        .size:           8
        .value_kind:     global_buffer
      - .offset:         64
        .size:           4
        .value_kind:     by_value
      - .address_space:  global
        .offset:         72
        .size:           8
        .value_kind:     global_buffer
      - .address_space:  global
        .offset:         80
        .size:           8
        .value_kind:     global_buffer
      - .address_space:  global
        .offset:         88
        .size:           8
        .value_kind:     global_buffer
      - .offset:         96
        .size:           4
        .value_kind:     by_value
      - .address_space:  global
        .offset:         104
        .size:           8
        .value_kind:     global_buffer
      - .offset:         112
        .size:           4
        .value_kind:     hidden_block_count_x
      - .offset:         116
        .size:           4
        .value_kind:     hidden_block_count_y
      - .offset:         120
        .size:           4
        .value_kind:     hidden_block_count_z
      - .offset:         124
        .size:           2
        .value_kind:     hidden_group_size_x
      - .offset:         126
        .size:           2
        .value_kind:     hidden_group_size_y
      - .offset:         128
        .size:           2
        .value_kind:     hidden_group_size_z
      - .offset:         130
        .size:           2
        .value_kind:     hidden_remainder_x
      - .offset:         132
        .size:           2
        .value_kind:     hidden_remainder_y
      - .offset:         134
        .size:           2
        .value_kind:     hidden_remainder_z
      - .offset:         152
        .size:           8
        .value_kind:     hidden_global_offset_x
      - .offset:         160
        .size:           8
        .value_kind:     hidden_global_offset_y
      - .offset:         168
        .size:           8
        .value_kind:     hidden_global_offset_z
      - .offset:         176
        .size:           2
        .value_kind:     hidden_grid_dims
    .group_segment_fixed_size: 0
    .kernarg_segment_align: 8
    .kernarg_segment_size: 368
    .language:       OpenCL C
    .language_version:
      - 2
      - 0
    .max_flat_workgroup_size: 1024
    .name:           _ZN9rocsparseL19csxsldu_fill_kernelILj1024EL20rocsparse_diag_type_0ELS1_1E21rocsparse_complex_numIdEiiEEvT4_PKT3_PKS4_PKT2_21rocsparse_index_base_S7_PS4_PSA_SD_S7_SE_SF_SD_SF_
    .private_segment_fixed_size: 0
    .sgpr_count:     25
    .sgpr_spill_count: 0
    .symbol:         _ZN9rocsparseL19csxsldu_fill_kernelILj1024EL20rocsparse_diag_type_0ELS1_1E21rocsparse_complex_numIdEiiEEvT4_PKT3_PKS4_PKT2_21rocsparse_index_base_S7_PS4_PSA_SD_S7_SE_SF_SD_SF_.kd
    .uniform_work_group_size: 1
    .uses_dynamic_stack: false
    .vgpr_count:     14
    .vgpr_spill_count: 0
    .wavefront_size: 32
amdhsa.target:   amdgcn-amd-amdhsa--gfx1250
amdhsa.version:
  - 1
  - 2
...

	.end_amdgpu_metadata
